;; amdgpu-corpus repo=ROCm/rocFFT kind=compiled arch=gfx1201 opt=O3
	.text
	.amdgcn_target "amdgcn-amd-amdhsa--gfx1201"
	.amdhsa_code_object_version 6
	.protected	fft_rtc_back_len1248_factors_2_2_13_2_3_2_2_wgs_52_tpt_52_halfLds_half_op_CI_CI_sbrr_dirReg ; -- Begin function fft_rtc_back_len1248_factors_2_2_13_2_3_2_2_wgs_52_tpt_52_halfLds_half_op_CI_CI_sbrr_dirReg
	.globl	fft_rtc_back_len1248_factors_2_2_13_2_3_2_2_wgs_52_tpt_52_halfLds_half_op_CI_CI_sbrr_dirReg
	.p2align	8
	.type	fft_rtc_back_len1248_factors_2_2_13_2_3_2_2_wgs_52_tpt_52_halfLds_half_op_CI_CI_sbrr_dirReg,@function
fft_rtc_back_len1248_factors_2_2_13_2_3_2_2_wgs_52_tpt_52_halfLds_half_op_CI_CI_sbrr_dirReg: ; @fft_rtc_back_len1248_factors_2_2_13_2_3_2_2_wgs_52_tpt_52_halfLds_half_op_CI_CI_sbrr_dirReg
; %bb.0:
	s_clause 0x2
	s_load_b128 s[12:15], s[0:1], 0x18
	s_load_b128 s[8:11], s[0:1], 0x0
	;; [unrolled: 1-line block ×3, first 2 shown]
	v_mul_u32_u24_e32 v1, 0x4ed, v0
	v_mov_b32_e32 v3, 0
	s_wait_kmcnt 0x0
	s_load_b64 s[18:19], s[12:13], 0x0
	s_load_b64 s[16:17], s[14:15], 0x0
	v_lshrrev_b32_e32 v1, 16, v1
	v_cmp_lt_u64_e64 s2, s[10:11], 2
	s_delay_alu instid0(VALU_DEP_2)
	v_add_nc_u32_e32 v5, ttmp9, v1
	v_mov_b32_e32 v1, 0
	v_mov_b32_e32 v2, 0
	;; [unrolled: 1-line block ×3, first 2 shown]
	s_and_b32 vcc_lo, exec_lo, s2
	s_cbranch_vccnz .LBB0_8
; %bb.1:
	s_load_b64 s[2:3], s[0:1], 0x10
	v_mov_b32_e32 v1, 0
	v_mov_b32_e32 v2, 0
	s_add_nc_u64 s[20:21], s[14:15], 8
	s_add_nc_u64 s[22:23], s[12:13], 8
	s_mov_b64 s[24:25], 1
	s_delay_alu instid0(VALU_DEP_1)
	v_dual_mov_b32 v15, v2 :: v_dual_mov_b32 v14, v1
	s_wait_kmcnt 0x0
	s_add_nc_u64 s[26:27], s[2:3], 8
	s_mov_b32 s3, 0
.LBB0_2:                                ; =>This Inner Loop Header: Depth=1
	s_load_b64 s[28:29], s[26:27], 0x0
                                        ; implicit-def: $vgpr16_vgpr17
	s_mov_b32 s2, exec_lo
	s_wait_kmcnt 0x0
	v_or_b32_e32 v4, s29, v6
	s_delay_alu instid0(VALU_DEP_1)
	v_cmpx_ne_u64_e32 0, v[3:4]
	s_wait_alu 0xfffe
	s_xor_b32 s30, exec_lo, s2
	s_cbranch_execz .LBB0_4
; %bb.3:                                ;   in Loop: Header=BB0_2 Depth=1
	s_cvt_f32_u32 s2, s28
	s_cvt_f32_u32 s31, s29
	s_sub_nc_u64 s[36:37], 0, s[28:29]
	s_wait_alu 0xfffe
	s_delay_alu instid0(SALU_CYCLE_1) | instskip(SKIP_1) | instid1(SALU_CYCLE_2)
	s_fmamk_f32 s2, s31, 0x4f800000, s2
	s_wait_alu 0xfffe
	v_s_rcp_f32 s2, s2
	s_delay_alu instid0(TRANS32_DEP_1) | instskip(SKIP_1) | instid1(SALU_CYCLE_2)
	s_mul_f32 s2, s2, 0x5f7ffffc
	s_wait_alu 0xfffe
	s_mul_f32 s31, s2, 0x2f800000
	s_wait_alu 0xfffe
	s_delay_alu instid0(SALU_CYCLE_2) | instskip(SKIP_1) | instid1(SALU_CYCLE_2)
	s_trunc_f32 s31, s31
	s_wait_alu 0xfffe
	s_fmamk_f32 s2, s31, 0xcf800000, s2
	s_cvt_u32_f32 s35, s31
	s_wait_alu 0xfffe
	s_delay_alu instid0(SALU_CYCLE_1) | instskip(SKIP_1) | instid1(SALU_CYCLE_2)
	s_cvt_u32_f32 s34, s2
	s_wait_alu 0xfffe
	s_mul_u64 s[38:39], s[36:37], s[34:35]
	s_wait_alu 0xfffe
	s_mul_hi_u32 s41, s34, s39
	s_mul_i32 s40, s34, s39
	s_mul_hi_u32 s2, s34, s38
	s_mul_i32 s33, s35, s38
	s_wait_alu 0xfffe
	s_add_nc_u64 s[40:41], s[2:3], s[40:41]
	s_mul_hi_u32 s31, s35, s38
	s_mul_hi_u32 s42, s35, s39
	s_add_co_u32 s2, s40, s33
	s_wait_alu 0xfffe
	s_add_co_ci_u32 s2, s41, s31
	s_mul_i32 s38, s35, s39
	s_add_co_ci_u32 s39, s42, 0
	s_wait_alu 0xfffe
	s_add_nc_u64 s[38:39], s[2:3], s[38:39]
	s_wait_alu 0xfffe
	v_add_co_u32 v4, s2, s34, s38
	s_delay_alu instid0(VALU_DEP_1) | instskip(SKIP_1) | instid1(VALU_DEP_1)
	s_cmp_lg_u32 s2, 0
	s_add_co_ci_u32 s35, s35, s39
	v_readfirstlane_b32 s34, v4
	s_wait_alu 0xfffe
	s_delay_alu instid0(VALU_DEP_1)
	s_mul_u64 s[36:37], s[36:37], s[34:35]
	s_wait_alu 0xfffe
	s_mul_hi_u32 s39, s34, s37
	s_mul_i32 s38, s34, s37
	s_mul_hi_u32 s2, s34, s36
	s_mul_i32 s33, s35, s36
	s_wait_alu 0xfffe
	s_add_nc_u64 s[38:39], s[2:3], s[38:39]
	s_mul_hi_u32 s31, s35, s36
	s_mul_hi_u32 s34, s35, s37
	s_wait_alu 0xfffe
	s_add_co_u32 s2, s38, s33
	s_add_co_ci_u32 s2, s39, s31
	s_mul_i32 s36, s35, s37
	s_add_co_ci_u32 s37, s34, 0
	s_wait_alu 0xfffe
	s_add_nc_u64 s[36:37], s[2:3], s[36:37]
	s_wait_alu 0xfffe
	v_add_co_u32 v4, s2, v4, s36
	s_delay_alu instid0(VALU_DEP_1) | instskip(SKIP_1) | instid1(VALU_DEP_1)
	s_cmp_lg_u32 s2, 0
	s_add_co_ci_u32 s2, s35, s37
	v_mul_hi_u32 v13, v5, v4
	s_wait_alu 0xfffe
	v_mad_co_u64_u32 v[7:8], null, v5, s2, 0
	v_mad_co_u64_u32 v[9:10], null, v6, v4, 0
	;; [unrolled: 1-line block ×3, first 2 shown]
	s_delay_alu instid0(VALU_DEP_3) | instskip(SKIP_1) | instid1(VALU_DEP_4)
	v_add_co_u32 v4, vcc_lo, v13, v7
	s_wait_alu 0xfffd
	v_add_co_ci_u32_e32 v7, vcc_lo, 0, v8, vcc_lo
	s_delay_alu instid0(VALU_DEP_2) | instskip(SKIP_1) | instid1(VALU_DEP_2)
	v_add_co_u32 v4, vcc_lo, v4, v9
	s_wait_alu 0xfffd
	v_add_co_ci_u32_e32 v4, vcc_lo, v7, v10, vcc_lo
	s_wait_alu 0xfffd
	v_add_co_ci_u32_e32 v7, vcc_lo, 0, v12, vcc_lo
	s_delay_alu instid0(VALU_DEP_2) | instskip(SKIP_1) | instid1(VALU_DEP_2)
	v_add_co_u32 v4, vcc_lo, v4, v11
	s_wait_alu 0xfffd
	v_add_co_ci_u32_e32 v9, vcc_lo, 0, v7, vcc_lo
	s_delay_alu instid0(VALU_DEP_2) | instskip(SKIP_1) | instid1(VALU_DEP_3)
	v_mul_lo_u32 v10, s29, v4
	v_mad_co_u64_u32 v[7:8], null, s28, v4, 0
	v_mul_lo_u32 v11, s28, v9
	s_delay_alu instid0(VALU_DEP_2) | instskip(NEXT) | instid1(VALU_DEP_2)
	v_sub_co_u32 v7, vcc_lo, v5, v7
	v_add3_u32 v8, v8, v11, v10
	s_delay_alu instid0(VALU_DEP_1) | instskip(SKIP_1) | instid1(VALU_DEP_1)
	v_sub_nc_u32_e32 v10, v6, v8
	s_wait_alu 0xfffd
	v_subrev_co_ci_u32_e64 v10, s2, s29, v10, vcc_lo
	v_add_co_u32 v11, s2, v4, 2
	s_wait_alu 0xf1ff
	v_add_co_ci_u32_e64 v12, s2, 0, v9, s2
	v_sub_co_u32 v13, s2, v7, s28
	v_sub_co_ci_u32_e32 v8, vcc_lo, v6, v8, vcc_lo
	s_wait_alu 0xf1ff
	v_subrev_co_ci_u32_e64 v10, s2, 0, v10, s2
	s_delay_alu instid0(VALU_DEP_3) | instskip(NEXT) | instid1(VALU_DEP_3)
	v_cmp_le_u32_e32 vcc_lo, s28, v13
	v_cmp_eq_u32_e64 s2, s29, v8
	s_wait_alu 0xfffd
	v_cndmask_b32_e64 v13, 0, -1, vcc_lo
	v_cmp_le_u32_e32 vcc_lo, s29, v10
	s_wait_alu 0xfffd
	v_cndmask_b32_e64 v16, 0, -1, vcc_lo
	v_cmp_le_u32_e32 vcc_lo, s28, v7
	;; [unrolled: 3-line block ×3, first 2 shown]
	s_wait_alu 0xfffd
	v_cndmask_b32_e64 v17, 0, -1, vcc_lo
	v_cmp_eq_u32_e32 vcc_lo, s29, v10
	s_wait_alu 0xf1ff
	s_delay_alu instid0(VALU_DEP_2)
	v_cndmask_b32_e64 v7, v17, v7, s2
	s_wait_alu 0xfffd
	v_cndmask_b32_e32 v10, v16, v13, vcc_lo
	v_add_co_u32 v13, vcc_lo, v4, 1
	s_wait_alu 0xfffd
	v_add_co_ci_u32_e32 v16, vcc_lo, 0, v9, vcc_lo
	s_delay_alu instid0(VALU_DEP_3) | instskip(SKIP_1) | instid1(VALU_DEP_2)
	v_cmp_ne_u32_e32 vcc_lo, 0, v10
	s_wait_alu 0xfffd
	v_cndmask_b32_e32 v8, v16, v12, vcc_lo
	v_cndmask_b32_e32 v10, v13, v11, vcc_lo
	v_cmp_ne_u32_e32 vcc_lo, 0, v7
	s_wait_alu 0xfffd
	s_delay_alu instid0(VALU_DEP_2)
	v_dual_cndmask_b32 v17, v9, v8 :: v_dual_cndmask_b32 v16, v4, v10
.LBB0_4:                                ;   in Loop: Header=BB0_2 Depth=1
	s_wait_alu 0xfffe
	s_and_not1_saveexec_b32 s2, s30
	s_cbranch_execz .LBB0_6
; %bb.5:                                ;   in Loop: Header=BB0_2 Depth=1
	v_cvt_f32_u32_e32 v4, s28
	s_sub_co_i32 s30, 0, s28
	v_mov_b32_e32 v17, v3
	s_delay_alu instid0(VALU_DEP_2) | instskip(NEXT) | instid1(TRANS32_DEP_1)
	v_rcp_iflag_f32_e32 v4, v4
	v_mul_f32_e32 v4, 0x4f7ffffe, v4
	s_delay_alu instid0(VALU_DEP_1) | instskip(SKIP_1) | instid1(VALU_DEP_1)
	v_cvt_u32_f32_e32 v4, v4
	s_wait_alu 0xfffe
	v_mul_lo_u32 v7, s30, v4
	s_delay_alu instid0(VALU_DEP_1) | instskip(NEXT) | instid1(VALU_DEP_1)
	v_mul_hi_u32 v7, v4, v7
	v_add_nc_u32_e32 v4, v4, v7
	s_delay_alu instid0(VALU_DEP_1) | instskip(NEXT) | instid1(VALU_DEP_1)
	v_mul_hi_u32 v4, v5, v4
	v_mul_lo_u32 v7, v4, s28
	v_add_nc_u32_e32 v8, 1, v4
	s_delay_alu instid0(VALU_DEP_2) | instskip(NEXT) | instid1(VALU_DEP_1)
	v_sub_nc_u32_e32 v7, v5, v7
	v_subrev_nc_u32_e32 v9, s28, v7
	v_cmp_le_u32_e32 vcc_lo, s28, v7
	s_wait_alu 0xfffd
	s_delay_alu instid0(VALU_DEP_2) | instskip(NEXT) | instid1(VALU_DEP_1)
	v_dual_cndmask_b32 v7, v7, v9 :: v_dual_cndmask_b32 v4, v4, v8
	v_cmp_le_u32_e32 vcc_lo, s28, v7
	s_delay_alu instid0(VALU_DEP_2) | instskip(SKIP_1) | instid1(VALU_DEP_1)
	v_add_nc_u32_e32 v8, 1, v4
	s_wait_alu 0xfffd
	v_cndmask_b32_e32 v16, v4, v8, vcc_lo
.LBB0_6:                                ;   in Loop: Header=BB0_2 Depth=1
	s_wait_alu 0xfffe
	s_or_b32 exec_lo, exec_lo, s2
	v_mul_lo_u32 v4, v17, s28
	s_delay_alu instid0(VALU_DEP_2)
	v_mul_lo_u32 v9, v16, s29
	s_load_b64 s[30:31], s[22:23], 0x0
	v_mad_co_u64_u32 v[7:8], null, v16, s28, 0
	s_load_b64 s[28:29], s[20:21], 0x0
	s_add_nc_u64 s[24:25], s[24:25], 1
	s_add_nc_u64 s[20:21], s[20:21], 8
	s_wait_alu 0xfffe
	v_cmp_ge_u64_e64 s2, s[24:25], s[10:11]
	s_add_nc_u64 s[22:23], s[22:23], 8
	s_add_nc_u64 s[26:27], s[26:27], 8
	v_add3_u32 v4, v8, v9, v4
	v_sub_co_u32 v5, vcc_lo, v5, v7
	s_wait_alu 0xfffd
	s_delay_alu instid0(VALU_DEP_2) | instskip(SKIP_2) | instid1(VALU_DEP_1)
	v_sub_co_ci_u32_e32 v4, vcc_lo, v6, v4, vcc_lo
	s_and_b32 vcc_lo, exec_lo, s2
	s_wait_kmcnt 0x0
	v_mul_lo_u32 v6, s30, v4
	v_mul_lo_u32 v7, s31, v5
	v_mad_co_u64_u32 v[1:2], null, s30, v5, v[1:2]
	v_mul_lo_u32 v4, s28, v4
	v_mul_lo_u32 v8, s29, v5
	v_mad_co_u64_u32 v[14:15], null, s28, v5, v[14:15]
	s_delay_alu instid0(VALU_DEP_4) | instskip(NEXT) | instid1(VALU_DEP_2)
	v_add3_u32 v2, v7, v2, v6
	v_add3_u32 v15, v8, v15, v4
	s_wait_alu 0xfffe
	s_cbranch_vccnz .LBB0_9
; %bb.7:                                ;   in Loop: Header=BB0_2 Depth=1
	v_dual_mov_b32 v5, v16 :: v_dual_mov_b32 v6, v17
	s_branch .LBB0_2
.LBB0_8:
	s_delay_alu instid0(VALU_DEP_2) | instskip(NEXT) | instid1(VALU_DEP_2)
	v_dual_mov_b32 v15, v2 :: v_dual_mov_b32 v14, v1
	v_dual_mov_b32 v17, v6 :: v_dual_mov_b32 v16, v5
.LBB0_9:
	s_load_b64 s[0:1], s[0:1], 0x28
	v_mul_hi_u32 v39, 0x4ec4ec5, v0
	s_lshl_b64 s[10:11], s[10:11], 3
                                        ; implicit-def: $sgpr2
                                        ; implicit-def: $vgpr12
                                        ; implicit-def: $vgpr29
                                        ; implicit-def: $vgpr31
                                        ; implicit-def: $vgpr33
                                        ; implicit-def: $vgpr35
                                        ; implicit-def: $vgpr37
                                        ; implicit-def: $vgpr18
                                        ; implicit-def: $vgpr20
                                        ; implicit-def: $vgpr22
                                        ; implicit-def: $vgpr24
                                        ; implicit-def: $vgpr26
                                        ; implicit-def: $vgpr28
	s_wait_kmcnt 0x0
	v_cmp_gt_u64_e32 vcc_lo, s[0:1], v[16:17]
	v_cmp_le_u64_e64 s0, s[0:1], v[16:17]
	s_delay_alu instid0(VALU_DEP_1)
	s_and_saveexec_b32 s1, s0
	s_wait_alu 0xfffe
	s_xor_b32 s0, exec_lo, s1
	s_cbranch_execz .LBB0_11
; %bb.10:
	v_mul_u32_u24_e32 v1, 52, v39
	s_mov_b32 s2, 0
                                        ; implicit-def: $vgpr39
	s_delay_alu instid0(VALU_DEP_1) | instskip(NEXT) | instid1(VALU_DEP_1)
	v_sub_nc_u32_e32 v12, v0, v1
                                        ; implicit-def: $vgpr0
                                        ; implicit-def: $vgpr1_vgpr2
	v_add_nc_u32_e32 v29, 52, v12
	v_add_nc_u32_e32 v31, 0x68, v12
	;; [unrolled: 1-line block ×11, first 2 shown]
.LBB0_11:
	s_wait_alu 0xfffe
	s_or_saveexec_b32 s1, s0
	v_dual_mov_b32 v6, s2 :: v_dual_mov_b32 v5, s2
	v_dual_mov_b32 v4, s2 :: v_dual_mov_b32 v3, s2
	;; [unrolled: 1-line block ×6, first 2 shown]
	s_add_nc_u64 s[2:3], s[14:15], s[10:11]
                                        ; implicit-def: $vgpr38
                                        ; implicit-def: $vgpr13
                                        ; implicit-def: $vgpr56
                                        ; implicit-def: $vgpr9
                                        ; implicit-def: $vgpr70
                                        ; implicit-def: $vgpr8
                                        ; implicit-def: $vgpr66
                                        ; implicit-def: $vgpr7
                                        ; implicit-def: $vgpr67
                                        ; implicit-def: $vgpr23
                                        ; implicit-def: $vgpr68
                                        ; implicit-def: $vgpr21
                                        ; implicit-def: $vgpr69
                                        ; implicit-def: $vgpr19
                                        ; implicit-def: $vgpr64
                                        ; implicit-def: $vgpr25
                                        ; implicit-def: $vgpr61
                                        ; implicit-def: $vgpr27
                                        ; implicit-def: $vgpr62
                                        ; implicit-def: $vgpr30
                                        ; implicit-def: $vgpr63
                                        ; implicit-def: $vgpr32
                                        ; implicit-def: $vgpr65
                                        ; implicit-def: $vgpr34
	s_wait_alu 0xfffe
	s_xor_b32 exec_lo, exec_lo, s1
	s_cbranch_execz .LBB0_13
; %bb.12:
	s_add_nc_u64 s[10:11], s[12:13], s[10:11]
	v_mul_u32_u24_e32 v3, 52, v39
	s_load_b64 s[10:11], s[10:11], 0x0
	s_delay_alu instid0(VALU_DEP_1) | instskip(SKIP_1) | instid1(VALU_DEP_2)
	v_sub_nc_u32_e32 v12, v0, v3
	v_lshlrev_b64_e32 v[0:1], 2, v[1:2]
	v_mad_co_u64_u32 v[3:4], null, s18, v12, 0
	v_add_nc_u32_e32 v11, 0x270, v12
	v_add_nc_u32_e32 v30, 0x3a8, v12
	;; [unrolled: 1-line block ×5, first 2 shown]
	v_dual_mov_b32 v2, v4 :: v_dual_add_nc_u32 v37, 0x104, v12
	v_mad_co_u64_u32 v[5:6], null, s18, v11, 0
	v_add_nc_u32_e32 v29, 52, v12
	s_wait_kmcnt 0x0
	v_mul_lo_u32 v4, s11, v16
	v_mul_lo_u32 v21, s10, v17
	v_mad_co_u64_u32 v[9:10], null, s10, v16, 0
	v_mad_co_u64_u32 v[18:19], null, s19, v12, v[2:3]
	v_mov_b32_e32 v2, v6
	v_mad_co_u64_u32 v[7:8], null, s18, v29, 0
	v_add_nc_u32_e32 v13, 0x2a4, v12
	v_add3_u32 v10, v10, v21, v4
	v_dual_mov_b32 v4, v18 :: v_dual_add_nc_u32 v31, 0x68, v12
	v_mad_co_u64_u32 v[21:22], null, s19, v11, v[2:3]
	v_mov_b32_e32 v6, v8
	s_delay_alu instid0(VALU_DEP_4) | instskip(SKIP_2) | instid1(VALU_DEP_4)
	v_lshlrev_b64_e32 v[8:9], 2, v[9:10]
	v_mad_co_u64_u32 v[19:20], null, s18, v13, 0
	v_lshlrev_b64_e32 v[3:4], 2, v[3:4]
	v_mad_co_u64_u32 v[10:11], null, s19, v29, v[6:7]
	s_delay_alu instid0(VALU_DEP_4) | instskip(SKIP_3) | instid1(VALU_DEP_3)
	v_add_co_u32 v11, s0, s4, v8
	s_wait_alu 0xf1ff
	v_add_co_ci_u32_e64 v9, s0, s5, v9, s0
	v_add_nc_u32_e32 v22, 0x2d8, v12
	v_add_co_u32 v34, s0, v11, v0
	s_wait_alu 0xf1ff
	s_delay_alu instid0(VALU_DEP_3)
	v_add_co_ci_u32_e64 v57, s0, v9, v1, s0
	v_mov_b32_e32 v2, v20
	v_mov_b32_e32 v6, v21
	v_add_co_u32 v3, s0, v34, v3
	v_mov_b32_e32 v8, v10
	v_mad_co_u64_u32 v[9:10], null, s18, v22, 0
	s_delay_alu instid0(VALU_DEP_3)
	v_mad_co_u64_u32 v[20:21], null, s19, v13, v[2:3]
	v_add_nc_u32_e32 v13, 0x30c, v12
	v_lshlrev_b64_e32 v[0:1], 2, v[5:6]
	v_mad_co_u64_u32 v[5:6], null, s18, v31, 0
	s_wait_alu 0xf1ff
	v_add_co_ci_u32_e64 v4, s0, v57, v4, s0
	v_mad_co_u64_u32 v[44:45], null, s18, v37, 0
	s_delay_alu instid0(VALU_DEP_4) | instskip(NEXT) | instid1(VALU_DEP_4)
	v_add_co_u32 v0, s0, v34, v0
	v_mov_b32_e32 v2, v6
	v_lshlrev_b64_e32 v[6:7], 2, v[7:8]
	v_mov_b32_e32 v8, v10
	s_wait_alu 0xf1ff
	v_add_co_ci_u32_e64 v1, s0, v57, v1, s0
	v_mad_co_u64_u32 v[10:11], null, s19, v31, v[2:3]
	s_delay_alu instid0(VALU_DEP_3)
	v_mad_co_u64_u32 v[21:22], null, s19, v22, v[8:9]
	v_add_co_u32 v22, s0, v34, v6
	s_wait_alu 0xf1ff
	v_add_co_ci_u32_e64 v23, s0, v57, v7, s0
	v_lshlrev_b64_e32 v[7:8], 2, v[19:20]
	v_mad_co_u64_u32 v[18:19], null, s18, v33, 0
	v_mov_b32_e32 v6, v10
	v_mov_b32_e32 v10, v21
	v_mad_co_u64_u32 v[20:21], null, s18, v13, 0
	v_add_co_u32 v7, s0, v34, v7
	v_mov_b32_e32 v2, v19
	v_lshlrev_b64_e32 v[5:6], 2, v[5:6]
	v_lshlrev_b64_e32 v[9:10], 2, v[9:10]
	s_wait_alu 0xf1ff
	v_add_co_ci_u32_e64 v8, s0, v57, v8, s0
	v_mov_b32_e32 v11, v21
	v_mad_co_u64_u32 v[24:25], null, s19, v33, v[2:3]
	v_add_co_u32 v38, s0, v34, v5
	s_delay_alu instid0(VALU_DEP_3) | instskip(SKIP_1) | instid1(VALU_DEP_4)
	v_mad_co_u64_u32 v[25:26], null, s19, v13, v[11:12]
	v_mad_co_u64_u32 v[26:27], null, s18, v35, 0
	v_mov_b32_e32 v19, v24
	v_or_b32_e32 v11, 0x340, v12
	s_wait_alu 0xf1ff
	v_add_co_ci_u32_e64 v39, s0, v57, v6, s0
	v_mov_b32_e32 v21, v25
	v_add_co_u32 v24, s0, v34, v9
	v_mov_b32_e32 v2, v27
	v_lshlrev_b64_e32 v[5:6], 2, v[18:19]
	s_wait_alu 0xf1ff
	v_add_co_ci_u32_e64 v25, s0, v57, v10, s0
	v_lshlrev_b64_e32 v[9:10], 2, v[20:21]
	v_mad_co_u64_u32 v[18:19], null, s19, v35, v[2:3]
	v_mad_co_u64_u32 v[19:20], null, s18, v11, 0
	v_add_co_u32 v40, s0, v34, v5
	s_wait_alu 0xf1ff
	v_add_co_ci_u32_e64 v41, s0, v57, v6, s0
	v_add_co_u32 v42, s0, v34, v9
	s_delay_alu instid0(VALU_DEP_4) | instskip(SKIP_3) | instid1(VALU_DEP_3)
	v_mov_b32_e32 v2, v20
	s_wait_alu 0xf1ff
	v_add_co_ci_u32_e64 v43, s0, v57, v10, s0
	v_mov_b32_e32 v27, v18
	v_mad_co_u64_u32 v[10:11], null, s19, v11, v[2:3]
	s_clause 0x7
	global_load_b32 v6, v[3:4], off
	global_load_b32 v13, v[0:1], off
	;; [unrolled: 1-line block ×8, first 2 shown]
	v_lshlrev_b64_e32 v[1:2], 2, v[26:27]
	v_mov_b32_e32 v0, v45
	v_mov_b32_e32 v20, v10
	s_delay_alu instid0(VALU_DEP_2) | instskip(SKIP_1) | instid1(VALU_DEP_3)
	v_mad_co_u64_u32 v[21:22], null, s19, v37, v[0:1]
	v_add_co_u32 v0, s0, v34, v1
	v_lshlrev_b64_e32 v[19:20], 2, v[19:20]
	s_wait_alu 0xf1ff
	v_add_co_ci_u32_e64 v1, s0, v57, v2, s0
	s_delay_alu instid0(VALU_DEP_4)
	v_mov_b32_e32 v45, v21
	v_mad_co_u64_u32 v[21:22], null, s18, v30, 0
	v_add_nc_u32_e32 v18, 0x374, v12
	v_add_co_u32 v23, s0, v34, v19
	s_wait_alu 0xf1ff
	v_add_co_ci_u32_e64 v24, s0, v57, v20, s0
	s_delay_alu instid0(VALU_DEP_3) | instskip(SKIP_3) | instid1(VALU_DEP_4)
	v_mad_co_u64_u32 v[46:47], null, s18, v18, 0
	v_add_nc_u32_e32 v20, 0x16c, v12
	v_lshlrev_b64_e32 v[25:26], 2, v[44:45]
	v_add_nc_u32_e32 v19, 0x3dc, v12
	v_mov_b32_e32 v11, v47
	s_delay_alu instid0(VALU_DEP_3) | instskip(SKIP_1) | instid1(VALU_DEP_4)
	v_add_co_u32 v25, s0, v34, v25
	s_wait_alu 0xf1ff
	v_add_co_ci_u32_e64 v26, s0, v57, v26, s0
	s_delay_alu instid0(VALU_DEP_3) | instskip(SKIP_2) | instid1(VALU_DEP_3)
	v_mad_co_u64_u32 v[10:11], null, s19, v18, v[11:12]
	v_add_nc_u32_e32 v18, 0x138, v12
	v_mad_co_u64_u32 v[42:43], null, s18, v19, 0
	v_mov_b32_e32 v47, v10
	s_delay_alu instid0(VALU_DEP_3) | instskip(NEXT) | instid1(VALU_DEP_2)
	v_mad_co_u64_u32 v[10:11], null, s18, v18, 0
	v_lshlrev_b64_e32 v[27:28], 2, v[46:47]
	s_delay_alu instid0(VALU_DEP_2) | instskip(NEXT) | instid1(VALU_DEP_2)
	v_dual_mov_b32 v2, v11 :: v_dual_mov_b32 v11, v22
	v_add_co_u32 v27, s0, v34, v27
	s_wait_alu 0xf1ff
	s_delay_alu instid0(VALU_DEP_3)
	v_add_co_ci_u32_e64 v28, s0, v57, v28, s0
	s_wait_loadcnt 0x2
	v_lshrrev_b32_e32 v70, 16, v8
	s_wait_loadcnt 0x1
	v_mad_co_u64_u32 v[38:39], null, s19, v18, v[2:3]
	v_mad_co_u64_u32 v[39:40], null, s19, v30, v[11:12]
	;; [unrolled: 1-line block ×3, first 2 shown]
	v_add_nc_u32_e32 v30, 0x410, v12
	s_wait_loadcnt 0x0
	v_lshrrev_b32_e32 v66, 16, v7
	s_delay_alu instid0(VALU_DEP_4) | instskip(NEXT) | instid1(VALU_DEP_3)
	v_dual_mov_b32 v11, v38 :: v_dual_mov_b32 v22, v39
	v_mad_co_u64_u32 v[48:49], null, s18, v30, 0
	v_mov_b32_e32 v2, v41
	s_delay_alu instid0(VALU_DEP_3) | instskip(NEXT) | instid1(VALU_DEP_4)
	v_lshlrev_b64_e32 v[10:11], 2, v[10:11]
	v_lshlrev_b64_e32 v[21:22], 2, v[21:22]
	s_delay_alu instid0(VALU_DEP_3) | instskip(NEXT) | instid1(VALU_DEP_3)
	v_mad_co_u64_u32 v[38:39], null, s19, v20, v[2:3]
	v_add_co_u32 v44, s0, v34, v10
	s_wait_alu 0xf1ff
	s_delay_alu instid0(VALU_DEP_4) | instskip(NEXT) | instid1(VALU_DEP_4)
	v_add_co_ci_u32_e64 v45, s0, v57, v11, s0
	v_add_co_u32 v46, s0, v34, v21
	s_delay_alu instid0(VALU_DEP_4) | instskip(SKIP_3) | instid1(VALU_DEP_3)
	v_dual_mov_b32 v2, v43 :: v_dual_mov_b32 v41, v38
	s_wait_alu 0xf1ff
	v_add_co_ci_u32_e64 v47, s0, v57, v22, s0
	v_add_nc_u32_e32 v22, 0x1a0, v12
	v_mad_co_u64_u32 v[38:39], null, s19, v19, v[2:3]
	s_clause 0x5
	global_load_b32 v36, v[0:1], off
	global_load_b32 v23, v[23:24], off
	;; [unrolled: 1-line block ×6, first 2 shown]
	v_lshlrev_b64_e32 v[1:2], 2, v[40:41]
	v_mad_co_u64_u32 v[50:51], null, s18, v22, 0
	v_mov_b32_e32 v0, v49
	v_dual_mov_b32 v43, v38 :: v_dual_add_nc_u32 v24, 0x1d4, v12
	s_delay_alu instid0(VALU_DEP_2) | instskip(NEXT) | instid1(VALU_DEP_4)
	v_mad_co_u64_u32 v[26:27], null, s19, v30, v[0:1]
	v_mov_b32_e32 v25, v51
	s_delay_alu instid0(VALU_DEP_3)
	v_lshlrev_b64_e32 v[27:28], 2, v[42:43]
	v_add_co_u32 v0, s0, v34, v1
	v_add_nc_u32_e32 v30, 0x444, v12
	s_wait_alu 0xf1ff
	v_add_co_ci_u32_e64 v1, s0, v57, v2, s0
	v_mad_co_u64_u32 v[38:39], null, s19, v22, v[25:26]
	v_mad_co_u64_u32 v[39:40], null, s18, v24, 0
	v_mov_b32_e32 v49, v26
	v_add_co_u32 v25, s0, v34, v27
	s_wait_alu 0xf1ff
	v_add_co_ci_u32_e64 v26, s0, v57, v28, s0
	s_delay_alu instid0(VALU_DEP_3) | instskip(SKIP_4) | instid1(VALU_DEP_4)
	v_lshlrev_b64_e32 v[27:28], 2, v[48:49]
	v_mov_b32_e32 v2, v40
	v_mad_co_u64_u32 v[41:42], null, s18, v30, 0
	v_mov_b32_e32 v51, v38
	v_mad_co_u64_u32 v[48:49], null, s18, v32, 0
	v_mad_co_u64_u32 v[43:44], null, s19, v24, v[2:3]
	v_add_co_u32 v27, s0, v34, v27
	s_delay_alu instid0(VALU_DEP_4)
	v_lshlrev_b64_e32 v[44:45], 2, v[50:51]
	s_wait_alu 0xf1ff
	v_add_co_ci_u32_e64 v28, s0, v57, v28, s0
	v_mov_b32_e32 v2, v42
	global_load_b32 v25, v[25:26], off
	v_mov_b32_e32 v40, v43
	global_load_b32 v27, v[27:28], off
	v_add_nc_u32_e32 v26, 0x208, v12
	v_mad_co_u64_u32 v[42:43], null, s19, v30, v[2:3]
	v_add_co_u32 v43, s0, v34, v44
	v_mov_b32_e32 v2, v49
	s_wait_alu 0xf1ff
	v_add_co_ci_u32_e64 v44, s0, v57, v45, s0
	v_add_nc_u32_e32 v45, 0x4ac, v12
	v_mad_co_u64_u32 v[46:47], null, s18, v26, 0
	v_mad_co_u64_u32 v[49:50], null, s19, v32, v[2:3]
	s_delay_alu instid0(VALU_DEP_3)
	v_mad_co_u64_u32 v[50:51], null, s18, v45, 0
	v_add_nc_u32_e32 v28, 0x23c, v12
	v_lshlrev_b64_e32 v[38:39], 2, v[39:40]
	v_mov_b32_e32 v30, v47
	v_lshlrev_b64_e32 v[40:41], 2, v[41:42]
	v_lshlrev_b64_e32 v[48:49], 2, v[48:49]
	v_mad_co_u64_u32 v[52:53], null, s18, v28, 0
	v_mov_b32_e32 v2, v51
	v_mad_co_u64_u32 v[54:55], null, s19, v26, v[30:31]
	v_add_co_u32 v38, s0, v34, v38
	s_delay_alu instid0(VALU_DEP_3)
	v_mad_co_u64_u32 v[55:56], null, s19, v45, v[2:3]
	s_wait_alu 0xf1ff
	v_add_co_ci_u32_e64 v39, s0, v57, v39, s0
	v_add_co_u32 v40, s0, v34, v40
	v_mov_b32_e32 v30, v53
	s_wait_alu 0xf1ff
	v_add_co_ci_u32_e64 v41, s0, v57, v41, s0
	v_mov_b32_e32 v47, v54
	v_mov_b32_e32 v51, v55
	v_mad_co_u64_u32 v[53:54], null, s19, v28, v[30:31]
	global_load_b32 v30, v[40:41], off
	v_lshlrev_b64_e32 v[40:41], 2, v[46:47]
	v_add_co_u32 v45, s0, v34, v48
	v_lshlrev_b64_e32 v[47:48], 2, v[50:51]
	s_wait_alu 0xf1ff
	v_add_co_ci_u32_e64 v46, s0, v57, v49, s0
	s_delay_alu instid0(VALU_DEP_4)
	v_add_co_u32 v49, s0, v34, v40
	s_wait_alu 0xf1ff
	v_add_co_ci_u32_e64 v50, s0, v57, v41, s0
	v_lshlrev_b64_e32 v[40:41], 2, v[52:53]
	global_load_b32 v32, v[45:46], off
	v_add_co_u32 v45, s0, v34, v47
	s_wait_alu 0xf1ff
	v_add_co_ci_u32_e64 v46, s0, v57, v48, s0
	v_add_co_u32 v47, s0, v34, v40
	s_wait_alu 0xf1ff
	v_add_co_ci_u32_e64 v48, s0, v57, v41, s0
	s_clause 0x5
	global_load_b32 v34, v[45:46], off
	global_load_b32 v60, v[0:1], off
	;; [unrolled: 1-line block ×6, first 2 shown]
	v_lshrrev_b32_e32 v38, 16, v13
	v_lshrrev_b32_e32 v56, 16, v9
	s_wait_loadcnt 0xe
	v_lshrrev_b32_e32 v67, 16, v23
	s_wait_loadcnt 0xc
	;; [unrolled: 2-line block ×8, first 2 shown]
	v_lshrrev_b32_e32 v65, 16, v34
.LBB0_13:
	s_or_b32 exec_lo, exec_lo, s1
	v_lshrrev_b32_e32 v0, 16, v6
	v_sub_f16_e32 v1, v6, v13
	v_sub_f16_e32 v2, v5, v9
	;; [unrolled: 1-line block ×6, first 2 shown]
	v_fma_f16 v6, v6, 2.0, -v1
	v_fma_f16 v13, v5, 2.0, -v2
	v_sub_f16_e32 v19, v10, v19
	v_fma_f16 v45, v0, 2.0, -v39
	v_sub_f16_e32 v0, v11, v21
	v_fma_f16 v21, v4, 2.0, -v8
	v_fma_f16 v23, v3, 2.0, -v7
	;; [unrolled: 1-line block ×3, first 2 shown]
	s_wait_loadcnt 0x4
	v_sub_f16_e32 v47, v60, v25
	v_fma_f16 v43, v11, 2.0, -v0
	s_wait_loadcnt 0x3
	v_sub_f16_e32 v27, v41, v27
	v_lshl_add_u32 v74, v12, 2, 0
	v_pack_b32_f16 v1, v6, v1
	v_lshl_add_u32 v75, v29, 2, 0
	v_pack_b32_f16 v2, v13, v2
	v_lshrrev_b32_e32 v4, 16, v4
	v_lshrrev_b32_e32 v86, 16, v5
	v_fma_f16 v44, v10, 2.0, -v19
	s_wait_loadcnt 0x2
	v_sub_f16_e32 v51, v57, v30
	s_wait_loadcnt 0x1
	v_sub_f16_e32 v52, v58, v32
	;; [unrolled: 2-line block ×3, first 2 shown]
	v_fma_f16 v32, v60, 2.0, -v47
	v_fma_f16 v34, v41, 2.0, -v27
	v_lshl_add_u32 v76, v31, 2, 0
	v_pack_b32_f16 v6, v21, v8
	ds_store_b32 v74, v1
	ds_store_b32 v75, v2
	v_lshl_add_u32 v25, v33, 2, 0
	v_pack_b32_f16 v1, v23, v7
	v_lshl_add_u32 v13, v35, 2, 0
	v_pack_b32_f16 v2, v42, v9
	;; [unrolled: 2-line block ×3, first 2 shown]
	v_sub_f16_e32 v70, v4, v70
	v_lshrrev_b32_e32 v3, 16, v3
	v_lshrrev_b32_e32 v36, 16, v36
	v_sub_f16_e32 v88, v86, v56
	v_lshrrev_b32_e32 v11, 16, v11
	v_lshrrev_b32_e32 v10, 16, v10
	v_fma_f16 v71, v57, 2.0, -v51
	v_fma_f16 v72, v58, 2.0, -v52
	;; [unrolled: 1-line block ×3, first 2 shown]
	v_lshlrev_b32_e32 v40, 1, v12
	v_lshlrev_b32_e32 v77, 1, v31
	ds_store_b32 v76, v6
	v_lshlrev_b32_e32 v48, 1, v33
	ds_store_b32 v25, v1
	;; [unrolled: 2-line block ×3, first 2 shown]
	ds_store_b32 v21, v0
	v_lshl_add_u32 v30, v18, 2, 0
	v_pack_b32_f16 v0, v44, v19
	v_lshl_add_u32 v19, v20, 2, 0
	v_pack_b32_f16 v1, v32, v47
	;; [unrolled: 2-line block ×3, first 2 shown]
	v_fma_f16 v4, v4, 2.0, -v70
	v_sub_f16_e32 v66, v3, v66
	v_sub_f16_e32 v67, v36, v67
	v_lshlrev_b32_e32 v38, 1, v29
	v_lshlrev_b32_e32 v46, 1, v37
	v_fma_f16 v86, v86, 2.0, -v88
	v_lshlrev_b32_e32 v49, 1, v18
	v_sub_f16_e32 v68, v11, v68
	v_lshlrev_b32_e32 v53, 1, v20
	v_sub_f16_e32 v69, v10, v69
	v_lshlrev_b32_e32 v54, 1, v22
	ds_store_b32 v30, v0
	ds_store_b32 v19, v1
	;; [unrolled: 1-line block ×3, first 2 shown]
	v_lshlrev_b32_e32 v47, 1, v24
	v_lshl_add_u32 v32, v24, 2, 0
	v_pack_b32_f16 v0, v71, v51
	v_lshl_add_u32 v34, v26, 2, 0
	v_pack_b32_f16 v1, v72, v52
	;; [unrolled: 2-line block ×3, first 2 shown]
	v_lshlrev_b32_e32 v51, 1, v26
	v_lshlrev_b32_e32 v52, 1, v28
	v_sub_nc_u32_e32 v71, v25, v48
	v_add_nc_u32_e32 v43, 0, v77
	v_add_nc_u32_e32 v42, 0, v40
	v_sub_nc_u32_e32 v78, v13, v50
	v_pack_b32_f16 v72, v45, v39
	v_pack_b32_f16 v4, v4, v70
	v_fma_f16 v3, v3, 2.0, -v66
	v_fma_f16 v36, v36, 2.0, -v67
	v_add_nc_u32_e32 v44, 0, v38
	v_sub_nc_u32_e32 v79, v21, v46
	v_pack_b32_f16 v86, v86, v88
	v_sub_nc_u32_e32 v80, v30, v49
	v_fma_f16 v11, v11, 2.0, -v68
	v_sub_nc_u32_e32 v82, v19, v53
	v_fma_f16 v10, v10, 2.0, -v69
	v_sub_nc_u32_e32 v83, v23, v54
	s_load_b64 s[2:3], s[2:3], 0x0
	ds_store_b32 v32, v0
	ds_store_b32 v34, v1
	;; [unrolled: 1-line block ×3, first 2 shown]
	global_wb scope:SCOPE_SE
	s_wait_dscnt 0x0
	s_wait_kmcnt 0x0
	s_barrier_signal -1
	s_barrier_wait -1
	global_inv scope:SCOPE_SE
	ds_load_u16 v73, v71
	ds_load_u16 v81, v42
	ds_load_u16 v9, v42 offset:1248
	ds_load_u16 v8, v42 offset:1352
	;; [unrolled: 1-line block ×7, first 2 shown]
	v_sub_nc_u32_e32 v84, v32, v47
	v_sub_nc_u32_e32 v85, v34, v51
	ds_load_u16 v55, v42 offset:1976
	ds_load_u16 v45, v42 offset:2080
	;; [unrolled: 1-line block ×4, first 2 shown]
	v_sub_nc_u32_e32 v87, v27, v52
	ds_load_u16 v89, v78
	ds_load_u16 v90, v79
	;; [unrolled: 1-line block ×10, first 2 shown]
	ds_load_u16 v56, v42 offset:2392
	global_wb scope:SCOPE_SE
	s_wait_dscnt 0x0
	s_barrier_signal -1
	s_barrier_wait -1
	global_inv scope:SCOPE_SE
	ds_store_b32 v74, v72
	ds_store_b32 v75, v86
	ds_store_b32 v76, v4
	v_pack_b32_f16 v3, v3, v66
	v_pack_b32_f16 v4, v36, v67
	v_lshrrev_b32_e32 v36, 16, v60
	v_pack_b32_f16 v11, v11, v68
	v_pack_b32_f16 v10, v10, v69
	ds_store_b32 v25, v3
	ds_store_b32 v13, v4
	;; [unrolled: 1-line block ×4, first 2 shown]
	v_sub_f16_e32 v3, v36, v64
	v_lshrrev_b32_e32 v4, 16, v41
	v_lshrrev_b32_e32 v10, 16, v57
	;; [unrolled: 1-line block ×4, first 2 shown]
	v_fma_f16 v36, v36, 2.0, -v3
	v_sub_f16_e32 v57, v4, v61
	v_sub_f16_e32 v58, v10, v62
	;; [unrolled: 1-line block ×4, first 2 shown]
	v_pack_b32_f16 v3, v36, v3
	v_fma_f16 v4, v4, 2.0, -v57
	v_fma_f16 v10, v10, 2.0, -v58
	v_fma_f16 v11, v11, 2.0, -v59
	v_fma_f16 v36, v41, 2.0, -v60
	ds_store_b32 v19, v3
	v_pack_b32_f16 v3, v4, v57
	v_pack_b32_f16 v4, v10, v58
	;; [unrolled: 1-line block ×4, first 2 shown]
	v_and_b32_e32 v36, 1, v12
	ds_store_b32 v23, v3
	ds_store_b32 v32, v4
	;; [unrolled: 1-line block ×4, first 2 shown]
	global_wb scope:SCOPE_SE
	s_wait_dscnt 0x0
	s_barrier_signal -1
	s_barrier_wait -1
	v_lshlrev_b32_e32 v3, 2, v36
	global_inv scope:SCOPE_SE
	v_and_or_b32 v4, 0x7c, v40, v36
	v_and_or_b32 v10, 0xfc, v38, v36
	v_and_or_b32 v11, 0x1fc, v77, v36
	global_load_b32 v3, v3, s[8:9]
	v_and_or_b32 v67, 0x3fc, v54, v36
	v_and_or_b32 v68, 0x7fc, v47, v36
	;; [unrolled: 1-line block ×9, first 2 shown]
	v_lshl_add_u32 v66, v4, 1, 0
	v_lshl_add_u32 v65, v10, 1, 0
	;; [unrolled: 1-line block ×7, first 2 shown]
	ds_load_u16 v110, v42 offset:1248
	ds_load_u16 v111, v42 offset:1352
	;; [unrolled: 1-line block ×11, first 2 shown]
	ds_load_u16 v72, v71
	ds_load_u16 v74, v43
	;; [unrolled: 1-line block ×3, first 2 shown]
	ds_load_u16 v103, v42 offset:2392
	ds_load_u16 v76, v78
	ds_load_u16 v98, v79
	;; [unrolled: 1-line block ×9, first 2 shown]
	v_lshl_add_u32 v62, v41, 1, 0
	v_lshl_add_u32 v59, v58, 1, 0
	;; [unrolled: 1-line block ×5, first 2 shown]
	global_wb scope:SCOPE_SE
	s_wait_loadcnt_dscnt 0x0
	s_barrier_signal -1
	s_barrier_wait -1
	global_inv scope:SCOPE_SE
	v_cmp_gt_u32_e64 s0, 44, v12
	v_lshrrev_b32_e32 v114, 16, v3
	s_delay_alu instid0(VALU_DEP_1)
	v_mul_f16_e32 v41, v110, v114
	v_mul_f16_e32 v61, v111, v114
	;; [unrolled: 1-line block ×12, first 2 shown]
	v_fmac_f16_e32 v41, v9, v3
	v_fmac_f16_e32 v61, v8, v3
	;; [unrolled: 1-line block ×12, first 2 shown]
	v_sub_f16_e32 v86, v81, v41
	v_sub_f16_e32 v87, v115, v61
	;; [unrolled: 1-line block ×12, first 2 shown]
	v_fma_f16 v85, v81, 2.0, -v86
	v_fma_f16 v115, v115, 2.0, -v87
	;; [unrolled: 1-line block ×12, first 2 shown]
	ds_store_b16 v66, v85
	ds_store_b16 v66, v86 offset:4
	ds_store_b16 v65, v115
	ds_store_b16 v65, v87 offset:4
	;; [unrolled: 2-line block ×12, first 2 shown]
	global_wb scope:SCOPE_SE
	s_wait_dscnt 0x0
	s_barrier_signal -1
	s_barrier_wait -1
	global_inv scope:SCOPE_SE
	ds_load_u16 v73, v42
	ds_load_u16 v97, v42 offset:192
	ds_load_u16 v96, v42 offset:384
	;; [unrolled: 1-line block ×12, first 2 shown]
                                        ; implicit-def: $vgpr88
                                        ; implicit-def: $vgpr90
	s_and_saveexec_b32 s1, s0
	s_cbranch_execz .LBB0_15
; %bb.14:
	ds_load_u16 v75, v42 offset:296
	ds_load_u16 v64, v42 offset:488
	;; [unrolled: 1-line block ×11, first 2 shown]
	ds_load_u16 v41, v44
	ds_load_u16 v88, v42 offset:2408
.LBB0_15:
	s_wait_alu 0xfffe
	s_or_b32 exec_lo, exec_lo, s1
	v_mul_f16_e32 v9, v9, v114
	v_mul_f16_e32 v8, v8, v114
	;; [unrolled: 1-line block ×5, first 2 shown]
	v_fma_f16 v9, v110, v3, -v9
	v_mul_f16_e32 v0, v0, v114
	v_mul_f16_e32 v1, v1, v114
	;; [unrolled: 1-line block ×7, first 2 shown]
	v_fma_f16 v8, v111, v3, -v8
	v_fma_f16 v7, v112, v3, -v7
	;; [unrolled: 1-line block ×8, first 2 shown]
	v_sub_f16_e32 v9, v109, v9
	v_fma_f16 v101, v101, v3, -v39
	v_fma_f16 v5, v102, v3, -v5
	;; [unrolled: 1-line block ×3, first 2 shown]
	v_sub_f16_e32 v8, v100, v8
	v_sub_f16_e32 v7, v74, v7
	v_fma_f16 v56, v109, 2.0, -v9
	v_sub_f16_e32 v6, v72, v6
	v_sub_f16_e32 v2, v76, v2
	;; [unrolled: 1-line block ×9, first 2 shown]
	v_fma_f16 v100, v100, 2.0, -v8
	v_fma_f16 v1, v74, 2.0, -v7
	;; [unrolled: 1-line block ×11, first 2 shown]
	global_wb scope:SCOPE_SE
	s_wait_dscnt 0x0
	s_barrier_signal -1
	s_barrier_wait -1
	global_inv scope:SCOPE_SE
	ds_store_b16 v66, v56
	ds_store_b16 v66, v9 offset:4
	ds_store_b16 v65, v100
	ds_store_b16 v65, v8 offset:4
	;; [unrolled: 2-line block ×12, first 2 shown]
	global_wb scope:SCOPE_SE
	s_wait_dscnt 0x0
	s_barrier_signal -1
	s_barrier_wait -1
	global_inv scope:SCOPE_SE
	ds_load_u16 v45, v42
	ds_load_u16 v127, v42 offset:192
	ds_load_u16 v126, v42 offset:384
	;; [unrolled: 1-line block ×12, first 2 shown]
                                        ; implicit-def: $vgpr117
                                        ; implicit-def: $vgpr119
	s_and_saveexec_b32 s1, s0
	s_cbranch_execz .LBB0_17
; %bb.16:
	ds_load_u16 v111, v42 offset:296
	ds_load_u16 v102, v42 offset:488
	;; [unrolled: 1-line block ×11, first 2 shown]
	ds_load_u16 v39, v44
	ds_load_u16 v117, v42 offset:2408
.LBB0_17:
	s_wait_alu 0xfffe
	s_or_b32 exec_lo, exec_lo, s1
	v_and_b32_e32 v36, 3, v12
	v_lshrrev_b32_e32 v55, 2, v12
	v_sub_nc_u32_e32 v72, 0, v46
	v_sub_nc_u32_e32 v70, 0, v49
	;; [unrolled: 1-line block ×3, first 2 shown]
	v_mul_u32_u24_e32 v0, 12, v36
	v_mul_u32_u24_e32 v46, 52, v55
	v_sub_nc_u32_e32 v69, 0, v51
	v_sub_nc_u32_e32 v53, 0, v52
	;; [unrolled: 1-line block ×3, first 2 shown]
	v_lshlrev_b32_e32 v8, 2, v0
	v_or_b32_e32 v46, v46, v36
	v_sub_nc_u32_e32 v68, 0, v48
	v_sub_nc_u32_e32 v48, 0, v50
	;; [unrolled: 1-line block ×3, first 2 shown]
	s_clause 0x2
	global_load_b128 v[0:3], v8, s[8:9] offset:8
	global_load_b128 v[4:7], v8, s[8:9] offset:24
	;; [unrolled: 1-line block ×3, first 2 shown]
	v_lshl_add_u32 v67, v46, 1, 0
	v_lshrrev_b32_e32 v54, 2, v29
	global_wb scope:SCOPE_SE
	s_wait_loadcnt_dscnt 0x0
	s_barrier_signal -1
	s_barrier_wait -1
	global_inv scope:SCOPE_SE
	v_lshrrev_b32_e32 v51, 16, v0
	v_lshrrev_b32_e32 v52, 16, v1
	;; [unrolled: 1-line block ×12, first 2 shown]
	v_mul_f16_e64 v130, v127, v51
	v_mul_f16_e64 v135, v97, v51
	;; [unrolled: 1-line block ×4, first 2 shown]
	v_mul_f16_e32 v112, v125, v55
	v_mul_f16_e64 v137, v95, v55
	v_mul_f16_e32 v100, v124, v56
	v_mul_f16_e64 v138, v94, v56
	;; [unrolled: 2-line block ×3, first 2 shown]
	v_mul_f16_e64 v140, v92, v60
	v_mul_f16_e32 v47, v121, v63
	v_mul_f16_e64 v141, v91, v63
	v_mul_f16_e32 v99, v120, v66
	;; [unrolled: 2-line block ×3, first 2 shown]
	v_mul_f16_e64 v143, v87, v76
	v_mul_f16_e64 v113, v116, v132
	;; [unrolled: 1-line block ×6, first 2 shown]
	v_mul_f16_e32 v46, v122, v60
	v_mul_f16_e64 v131, v114, v134
	v_mul_f16_e32 v74, v111, v51
	v_mul_f16_e64 v147, v75, v51
	;; [unrolled: 2-line block ×10, first 2 shown]
	v_mul_f16_e64 v63, v106, v132
	v_mul_f16_e64 v132, v78, v132
	;; [unrolled: 1-line block ×5, first 2 shown]
	v_fmac_f16_e64 v130, v97, v0
	v_fma_f16 v97, v127, v0, -v135
	v_fmac_f16_e64 v128, v96, v1
	v_fma_f16 v96, v126, v1, -v136
	v_fmac_f16_e32 v112, v95, v2
	v_fma_f16 v95, v125, v2, -v137
	v_fmac_f16_e32 v100, v94, v3
	v_fma_f16 v94, v124, v3, -v138
	v_fmac_f16_e32 v98, v93, v4
	v_fma_f16 v93, v123, v4, -v139
	v_fma_f16 v51, v122, v5, -v140
	v_fmac_f16_e32 v47, v91, v6
	v_fma_f16 v52, v121, v6, -v141
	v_fmac_f16_e32 v99, v89, v7
	;; [unrolled: 2-line block ×4, first 2 shown]
	v_fma_f16 v86, v116, v9, -v144
	v_fmac_f16_e64 v129, v85, v10
	v_fma_f16 v91, v115, v10, -v145
	v_fma_f16 v85, v114, v11, -v146
	v_mul_f16_e64 v133, v90, v133
	v_fmac_f16_e32 v46, v92, v5
	v_fmac_f16_e64 v131, v77, v11
	v_fmac_f16_e32 v74, v75, v0
	v_fma_f16 v77, v111, v0, -v147
	v_fmac_f16_e32 v65, v64, v1
	v_fma_f16 v75, v102, v1, -v148
	v_fmac_f16_e32 v62, v84, v2
	v_fmac_f16_e32 v55, v80, v5
	v_fma_f16 v0, v104, v5, -v152
	v_fmac_f16_e32 v56, v82, v6
	v_fma_f16 v1, v108, v6, -v153
	v_fmac_f16_e32 v58, v79, v7
	v_fmac_f16_e32 v60, v81, v8
	;; [unrolled: 1-line block ×3, first 2 shown]
	v_fma_f16 v5, v106, v9, -v132
	v_fmac_f16_e32 v66, v90, v10
	v_fmac_f16_e32 v76, v88, v11
	v_fma_f16 v6, v117, v11, -v134
	v_sub_f16_e32 v9, v97, v85
	v_sub_f16_e32 v11, v96, v91
	;; [unrolled: 1-line block ×6, first 2 shown]
	v_add_f16_e64 v90, v73, v130
	v_fma_f16 v64, v110, v2, -v149
	v_fmac_f16_e32 v59, v61, v3
	v_fma_f16 v61, v103, v3, -v150
	v_fmac_f16_e32 v57, v83, v4
	v_fma_f16 v2, v109, v4, -v151
	v_fma_f16 v3, v105, v7, -v154
	;; [unrolled: 1-line block ×4, first 2 shown]
	v_add_f16_e64 v8, v130, v131
	v_add_f16_e64 v10, v128, v129
	v_add_f16_e32 v78, v112, v113
	v_add_f16_e32 v80, v100, v101
	;; [unrolled: 1-line block ×4, first 2 shown]
	v_mul_f16_e32 v92, 0xb770, v9
	v_mul_f16_e32 v102, 0xba95, v9
	;; [unrolled: 1-line block ×30, first 2 shown]
	v_mul_f16_e64 v132, 0xb3a8, v84
	v_mul_f16_e64 v133, 0x3770, v84
	;; [unrolled: 1-line block ×5, first 2 shown]
	v_mul_f16_e32 v84, 0x3bf1, v84
	v_add_f16_e64 v90, v90, v128
	v_fma_f16 v137, 0x3b15, v8, v92
	v_fma_f16 v92, v8, 0x3b15, -v92
	v_fma_f16 v138, 0x388b, v8, v102
	v_fma_f16 v102, v8, 0x388b, -v102
	;; [unrolled: 2-line block ×6, first 2 shown]
	v_fmamk_f16 v9, v10, 0x388b, v106
	v_fma_f16 v106, v10, 0x388b, -v106
	v_fma_f16 v143, 0xb5ac, v10, v107
	v_fma_f16 v107, v10, 0xb5ac, -v107
	v_fma_f16 v144, 0xbbc4, v10, v108
	v_fma_f16 v108, v10, 0xbbc4, -v108
	v_fma_f16 v145, 0xb9fd, v10, v109
	v_fma_f16 v109, v10, 0xb9fd, -v109
	v_fma_f16 v146, 0x2fb7, v10, v110
	v_fma_f16 v110, v10, 0x2fb7, -v110
	v_fma_f16 v147, 0x3b15, v10, v11
	v_fma_f16 v10, v10, 0x3b15, -v11
	v_fmamk_f16 v11, v78, 0x2fb7, v111
	v_fma_f16 v111, v78, 0x2fb7, -v111
	v_fma_f16 v148, 0xbbc4, v78, v114
	v_fma_f16 v114, v78, 0xbbc4, -v114
	v_fma_f16 v149, 0xb5ac, v78, v115
	v_fma_f16 v115, v78, 0xb5ac, -v115
	v_fma_f16 v150, 0x3b15, v78, v116
	v_fma_f16 v116, v78, 0x3b15, -v116
	v_fma_f16 v151, 0x388b, v78, v117
	v_fma_f16 v117, v78, 0x388b, -v117
	v_fma_f16 v152, 0xb9fd, v78, v79
	v_fma_f16 v78, v78, 0xb9fd, -v79
	;; [unrolled: 12-line block ×4, first 2 shown]
	v_fma_f16 v83, 0xbbc4, v88, v132
	v_fma_f16 v132, v88, 0xbbc4, -v132
	v_fma_f16 v163, 0x3b15, v88, v133
	v_fma_f16 v133, v88, 0x3b15, -v133
	;; [unrolled: 2-line block ×6, first 2 shown]
	v_add_f16_e32 v88, v90, v112
	v_add_f16_e64 v90, v73, v137
	v_add_f16_e32 v92, v73, v92
	v_add_f16_e64 v137, v73, v138
	;; [unrolled: 2-line block ×6, first 2 shown]
	v_add_f16_e32 v8, v73, v8
	v_add_f16_e32 v73, v88, v100
	;; [unrolled: 1-line block ×3, first 2 shown]
	v_add_f16_e64 v90, v143, v137
	v_add_f16_e32 v88, v106, v92
	v_add_f16_e32 v8, v10, v8
	;; [unrolled: 1-line block ×4, first 2 shown]
	v_add_f16_e64 v102, v144, v138
	v_add_f16_e64 v106, v145, v139
	v_add_f16_e32 v103, v108, v103
	v_add_f16_e32 v10, v10, v46
	;; [unrolled: 1-line block ×3, first 2 shown]
	v_add_f16_e64 v107, v146, v140
	v_add_f16_e64 v108, v147, v141
	v_add_f16_e32 v105, v110, v105
	v_add_f16_e32 v10, v10, v47
	v_add_f16_e64 v73, v148, v90
	v_add_f16_e32 v9, v11, v9
	v_add_f16_e64 v90, v149, v102
	v_add_f16_e64 v102, v150, v106
	v_add_f16_e32 v10, v10, v99
	v_add_f16_e32 v11, v111, v88
	;; [unrolled: 1-line block ×5, first 2 shown]
	v_add_f16_e64 v104, v151, v107
	v_add_f16_e64 v106, v152, v108
	v_add_f16_e32 v105, v117, v105
	v_add_f16_e32 v8, v78, v8
	v_add_f16_e64 v73, v153, v73
	v_add_f16_e32 v10, v10, v101
	v_add_f16_e32 v9, v79, v9
	v_add_f16_e64 v79, v154, v90
	v_add_f16_e64 v90, v155, v102
	;; [unrolled: 1-line block ×4, first 2 shown]
	v_add_f16_e32 v11, v118, v11
	v_add_f16_e32 v78, v119, v88
	v_add_f16_e32 v88, v120, v92
	v_add_f16_e32 v92, v121, v103
	v_add_f16_e32 v103, v122, v105
	v_add_f16_e32 v8, v80, v8
	v_add_f16_e64 v73, v158, v73
	v_add_f16_e32 v10, v10, v113
	v_add_f16_e64 v79, v159, v79
	v_add_f16_e32 v9, v81, v9
	v_add_f16_e64 v81, v160, v90
	v_add_f16_e64 v90, v161, v102
	;; [unrolled: 1-line block ×3, first 2 shown]
	v_add_f16_e32 v11, v123, v11
	v_add_f16_e32 v78, v124, v78
	;; [unrolled: 1-line block ×6, first 2 shown]
	v_add_f16_e64 v73, v163, v73
	v_add_f16_e64 v10, v10, v129
	;; [unrolled: 1-line block ×4, first 2 shown]
	v_add_f16_e32 v9, v83, v9
	v_add_f16_e64 v83, v166, v90
	v_add_f16_e64 v90, v167, v102
	;; [unrolled: 1-line block ×7, first 2 shown]
	v_add_f16_e32 v8, v84, v8
	v_add_f16_e64 v10, v10, v131
	ds_store_b16 v67, v73 offset:16
	ds_store_b16 v67, v79 offset:24
	;; [unrolled: 1-line block ×7, first 2 shown]
	ds_store_b16 v67, v10
	ds_store_b16 v67, v88 offset:64
	ds_store_b16 v67, v82 offset:72
	;; [unrolled: 1-line block ×5, first 2 shown]
	s_and_saveexec_b32 s1, s0
	s_cbranch_execz .LBB0_19
; %bb.18:
	v_sub_f16_e32 v10, v77, v6
	v_add_f16_e32 v9, v74, v76
	v_sub_f16_e32 v73, v75, v7
	v_add_f16_e32 v11, v65, v66
	v_sub_f16_e32 v79, v64, v5
	v_mul_f16_e32 v90, 0xb3a8, v10
	v_add_f16_e32 v78, v62, v63
	v_mul_f16_e32 v92, 0x3770, v73
	v_sub_f16_e32 v81, v61, v4
	v_mul_f16_e32 v102, 0xb94e, v79
	v_fma_f16 v109, v9, 0xbbc4, -v90
	v_fmac_f16_e32 v90, 0xbbc4, v9
	v_fma_f16 v110, v11, 0x3b15, -v92
	v_mul_f16_e32 v106, 0xb94e, v10
	v_fma_f16 v111, v78, 0xb9fd, -v102
	v_add_f16_e32 v109, v41, v109
	v_fmac_f16_e32 v92, 0x3b15, v11
	v_add_f16_e32 v90, v41, v90
	v_add_f16_e32 v80, v59, v60
	v_sub_f16_e32 v83, v2, v3
	v_add_f16_e32 v109, v110, v109
	v_mul_f16_e32 v103, 0x3a95, v81
	v_mul_f16_e32 v107, 0x3bf1, v73
	v_fmac_f16_e32 v102, 0xb9fd, v78
	v_add_f16_e32 v90, v92, v90
	v_add_f16_e32 v92, v111, v109
	v_fma_f16 v109, v9, 0xb9fd, -v106
	v_add_f16_e32 v82, v57, v58
	v_mul_f16_e32 v104, 0xbb7b, v83
	v_mul_f16_e32 v108, 0xba95, v79
	v_fma_f16 v114, v80, 0x388b, -v103
	v_fmac_f16_e32 v103, 0x388b, v80
	v_fma_f16 v110, v11, 0x2fb7, -v107
	v_add_f16_e32 v90, v102, v90
	v_add_f16_e32 v102, v41, v109
	v_sub_f16_e32 v88, v0, v1
	v_fma_f16 v115, v82, 0xb5ac, -v104
	v_fmac_f16_e32 v104, 0xb5ac, v82
	v_add_f16_e32 v90, v103, v90
	v_add_f16_e32 v102, v110, v102
	v_fma_f16 v103, v78, 0x388b, -v108
	v_mul_f16_e32 v109, 0x33a8, v81
	v_add_f16_e32 v84, v55, v56
	v_mul_f16_e32 v105, 0x3bf1, v88
	v_add_f16_e32 v90, v104, v90
	v_fmac_f16_e32 v106, 0xb9fd, v9
	v_add_f16_e32 v102, v103, v102
	v_fma_f16 v103, v80, 0xbbc4, -v109
	v_mul_f16_e32 v104, 0x3770, v83
	v_fma_f16 v116, v84, 0x2fb7, -v105
	v_fmac_f16_e32 v105, 0x2fb7, v84
	v_add_f16_e32 v106, v41, v106
	v_fmac_f16_e32 v107, 0x2fb7, v11
	v_add_f16_e32 v102, v103, v102
	v_fma_f16 v103, v82, 0x3b15, -v104
	v_mul_f16_e32 v110, 0xbb7b, v10
	v_add_f16_e32 v90, v105, v90
	v_add_f16_e32 v105, v107, v106
	v_fmac_f16_e32 v108, 0x388b, v78
	v_add_f16_e32 v102, v103, v102
	v_fma_f16 v103, v9, 0xb5ac, -v110
	v_mul_f16_e32 v106, 0x394e, v73
	v_fmac_f16_e32 v109, 0xbbc4, v80
	v_add_f16_e32 v105, v108, v105
	v_mul_f16_e32 v111, 0x3770, v79
	v_add_f16_e32 v103, v41, v103
	v_fma_f16 v108, v11, 0xb9fd, -v106
	v_fmac_f16_e32 v110, 0xb5ac, v9
	v_mul_f16_e32 v107, 0xbb7b, v88
	v_add_f16_e32 v105, v109, v105
	v_fmac_f16_e32 v104, 0x3b15, v82
	v_add_f16_e32 v103, v108, v103
	v_fma_f16 v108, v78, 0x3b15, -v111
	v_mul_f16_e32 v109, 0xbbf1, v81
	v_add_f16_e32 v110, v41, v110
	v_fmac_f16_e32 v106, 0xb9fd, v11
	v_add_f16_e32 v92, v114, v92
	v_fma_f16 v114, v84, 0xb5ac, -v107
	v_add_f16_e32 v104, v104, v105
	v_add_f16_e32 v103, v108, v103
	v_fma_f16 v105, v80, 0x2fb7, -v109
	v_mul_f16_e32 v108, 0x33a8, v83
	v_add_f16_e32 v106, v106, v110
	v_fmac_f16_e32 v111, 0x3b15, v78
	v_add_f16_e32 v102, v114, v102
	v_fmac_f16_e32 v107, 0xb5ac, v84
	v_add_f16_e32 v103, v105, v103
	v_fma_f16 v105, v82, 0xbbc4, -v108
	v_mul_f16_e32 v114, 0xbbf1, v10
	v_add_f16_e32 v106, v111, v106
	v_fmac_f16_e32 v109, 0x2fb7, v80
	v_add_f16_e32 v8, v41, v74
	v_add_f16_e32 v92, v115, v92
	;; [unrolled: 1-line block ×4, first 2 shown]
	v_fma_f16 v105, v9, 0x2fb7, -v114
	v_mul_f16_e32 v107, 0xb3a8, v73
	v_mul_f16_e32 v110, 0x3a95, v88
	v_add_f16_e32 v106, v109, v106
	v_fmac_f16_e32 v108, 0xbbc4, v82
	v_add_f16_e32 v8, v8, v65
	v_add_f16_e32 v92, v116, v92
	;; [unrolled: 1-line block ×3, first 2 shown]
	v_fma_f16 v111, v11, 0xbbc4, -v107
	v_mul_f16_e32 v115, 0x3b7b, v79
	v_fma_f16 v116, v84, 0x388b, -v110
	v_add_f16_e32 v106, v108, v106
	v_fmac_f16_e32 v114, 0x2fb7, v9
	v_fmac_f16_e32 v110, 0x388b, v84
	v_add_f16_e32 v8, v8, v62
	v_add_f16_e32 v105, v111, v105
	v_fma_f16 v109, v78, 0xb5ac, -v115
	v_mul_f16_e32 v111, 0x3770, v81
	v_add_f16_e32 v114, v41, v114
	v_fmac_f16_e32 v107, 0xbbc4, v11
	v_add_f16_e32 v106, v110, v106
	v_mul_f16_e32 v110, 0xba95, v10
	v_add_f16_e32 v8, v8, v59
	v_add_f16_e32 v103, v116, v103
	;; [unrolled: 1-line block ×3, first 2 shown]
	v_fma_f16 v108, v80, 0x3b15, -v111
	v_mul_f16_e32 v109, 0xba95, v83
	v_add_f16_e32 v107, v107, v114
	v_fmac_f16_e32 v115, 0xb5ac, v78
	v_fma_f16 v114, v9, 0x388b, -v110
	v_mul_f16_e32 v116, 0xbb7b, v73
	v_fmac_f16_e32 v110, 0x388b, v9
	v_add_f16_e32 v8, v8, v57
	v_add_f16_e32 v105, v108, v105
	v_fma_f16 v108, v82, 0x388b, -v109
	v_add_f16_e32 v107, v115, v107
	v_fmac_f16_e32 v111, 0x3b15, v80
	v_add_f16_e32 v114, v41, v114
	v_fma_f16 v117, v11, 0xb5ac, -v116
	v_mul_f16_e32 v118, 0xb3a8, v79
	v_add_f16_e32 v110, v41, v110
	v_fmac_f16_e32 v116, 0xb5ac, v11
	v_mul_f16_e32 v10, 0xb770, v10
	v_add_f16_e32 v8, v8, v55
	v_add_f16_e32 v105, v108, v105
	v_mul_f16_e32 v108, 0xb94e, v88
	v_add_f16_e32 v107, v111, v107
	v_add_f16_e32 v111, v117, v114
	v_fma_f16 v114, v78, 0xbbc4, -v118
	v_add_f16_e32 v110, v116, v110
	v_fmac_f16_e32 v118, 0xbbc4, v78
	v_mul_f16_e32 v73, 0xba95, v73
	v_fma_f16 v116, v9, 0x3b15, -v10
	v_fmac_f16_e32 v10, 0x3b15, v9
	v_add_f16_e32 v8, v8, v56
	v_fma_f16 v115, v84, 0xb9fd, -v108
	v_add_f16_e32 v9, v118, v110
	v_fma_f16 v110, v11, 0x388b, -v73
	v_mul_f16_e32 v79, 0xbbf1, v79
	v_add_f16_e32 v10, v41, v10
	v_fmac_f16_e32 v73, 0x388b, v11
	v_add_f16_e32 v8, v8, v58
	v_add_f16_e32 v105, v115, v105
	v_mul_f16_e32 v115, 0x394e, v81
	v_add_f16_e32 v11, v41, v116
	v_fma_f16 v41, v78, 0x2fb7, -v79
	v_mul_f16_e32 v81, 0xbb7b, v81
	v_add_f16_e32 v10, v73, v10
	v_fmac_f16_e32 v79, 0x2fb7, v78
	v_fmac_f16_e32 v109, 0x388b, v82
	v_add_f16_e32 v8, v8, v60
	v_add_f16_e32 v11, v110, v11
	v_mul_f16_e32 v73, 0xb94e, v83
	v_fma_f16 v78, v80, 0xb5ac, -v81
	v_add_f16_e32 v10, v79, v10
	v_fmac_f16_e32 v81, 0xb5ac, v80
	v_add_f16_e32 v107, v109, v107
	v_fmac_f16_e32 v108, 0xb9fd, v84
	v_add_f16_e32 v109, v114, v111
	v_fma_f16 v111, v80, 0xb9fd, -v115
	v_mul_f16_e32 v114, 0x3bf1, v83
	v_fmac_f16_e32 v115, 0xb9fd, v80
	v_mul_lo_u32 v80, v54, 52
	v_add_f16_e32 v8, v8, v63
	v_add_f16_e32 v11, v41, v11
	v_fma_f16 v41, v82, 0xb9fd, -v73
	v_add_f16_e32 v10, v81, v10
	v_fmac_f16_e32 v73, 0xb9fd, v82
	v_mul_f16_e32 v79, 0xb3a8, v88
	v_add_f16_e32 v107, v108, v107
	v_add_f16_e32 v108, v111, v109
	v_fma_f16 v109, v82, 0x2fb7, -v114
	v_mul_f16_e32 v111, 0x3770, v88
	v_add_f16_e32 v9, v115, v9
	v_fmac_f16_e32 v114, 0x2fb7, v82
	v_add_f16_e32 v8, v8, v66
	v_add_f16_e32 v11, v78, v11
	;; [unrolled: 1-line block ×3, first 2 shown]
	v_or_b32_e32 v73, v80, v36
	v_fma_f16 v78, v84, 0xbbc4, -v79
	v_fmac_f16_e32 v79, 0xbbc4, v84
	v_fma_f16 v81, v84, 0x3b15, -v111
	v_add_f16_e32 v9, v114, v9
	v_fmac_f16_e32 v111, 0x3b15, v84
	v_add_f16_e32 v8, v8, v76
	v_add_f16_e32 v80, v109, v108
	v_add_f16_e32 v11, v41, v11
	v_lshl_add_u32 v41, v73, 1, 0
	v_add_f16_e32 v10, v79, v10
	v_add_f16_e32 v9, v111, v9
	;; [unrolled: 1-line block ×4, first 2 shown]
	ds_store_b16 v41, v8
	ds_store_b16 v41, v10 offset:8
	ds_store_b16 v41, v9 offset:16
	;; [unrolled: 1-line block ×12, first 2 shown]
.LBB0_19:
	s_wait_alu 0xfffe
	s_or_b32 exec_lo, exec_lo, s1
	v_add_f16_e32 v8, v45, v97
	v_add_f16_e32 v9, v97, v85
	v_sub_f16_e64 v10, v130, v131
	v_add_f16_e32 v11, v96, v91
	v_sub_f16_e64 v41, v128, v129
	v_add_f16_e32 v8, v8, v96
	v_mul_f16_e32 v73, 0x3b15, v9
	v_mul_f16_e32 v78, 0x388b, v9
	;; [unrolled: 1-line block ×4, first 2 shown]
	v_add_f16_e32 v8, v8, v95
	v_mul_f16_e32 v81, 0xb9fd, v9
	v_mul_f16_e32 v9, 0xbbc4, v9
	;; [unrolled: 1-line block ×3, first 2 shown]
	v_fmamk_f16 v90, v10, 0x3770, v73
	v_add_f16_e32 v8, v8, v94
	v_fmac_f16_e32 v73, 0xb770, v10
	v_mul_f16_e32 v83, 0xb5ac, v11
	v_mul_f16_e32 v84, 0xbbc4, v11
	v_fmamk_f16 v92, v10, 0x3a95, v78
	v_add_f16_e32 v8, v8, v93
	v_fmac_f16_e32 v78, 0xba95, v10
	v_fmamk_f16 v96, v10, 0x3bf1, v79
	v_fmac_f16_e32 v79, 0xbbf1, v10
	v_fmamk_f16 v97, v10, 0x3b7b, v80
	v_add_f16_e32 v8, v8, v51
	v_fmac_f16_e32 v80, 0xbb7b, v10
	v_fmamk_f16 v102, v10, 0x394e, v81
	v_fmac_f16_e32 v81, 0xb94e, v10
	;; [unrolled: 5-line block ×3, first 2 shown]
	v_add_f16_e32 v73, v45, v73
	v_add_f16_e32 v8, v8, v89
	v_mul_f16_e32 v88, 0xb9fd, v11
	v_fmamk_f16 v104, v41, 0x3b7b, v83
	v_fmac_f16_e32 v83, 0xbb7b, v41
	v_add_f16_e32 v90, v45, v90
	v_add_f16_e32 v8, v8, v87
	;; [unrolled: 1-line block ×15, first 2 shown]
	v_fmamk_f16 v73, v41, 0x33a8, v84
	v_fmac_f16_e32 v84, 0xb3a8, v41
	v_add_f16_e32 v78, v83, v78
	v_fmamk_f16 v82, v41, 0xb94e, v88
	v_fmac_f16_e32 v88, 0x394e, v41
	v_mul_f16_e32 v83, 0x2fb7, v11
	v_add_f16_e32 v79, v84, v79
	v_add_f16_e32 v84, v95, v86
	;; [unrolled: 1-line block ×4, first 2 shown]
	v_fmamk_f16 v86, v41, 0xbbf1, v83
	v_mul_f16_e32 v11, 0x3b15, v11
	v_fmac_f16_e32 v83, 0x3bf1, v41
	v_sub_f16_e32 v88, v112, v113
	v_mul_f16_e32 v90, 0x2fb7, v84
	v_add_f16_e32 v85, v8, v85
	v_add_f16_e32 v8, v104, v92
	v_fmamk_f16 v92, v41, 0xb770, v11
	v_fmac_f16_e32 v11, 0x3770, v41
	v_add_f16_e32 v41, v83, v81
	v_fmamk_f16 v81, v88, 0x3bf1, v90
	v_mul_f16_e32 v83, 0xbbc4, v84
	v_fmac_f16_e32 v90, 0xbbf1, v88
	v_add_f16_e32 v9, v11, v9
	v_add_f16_e32 v73, v73, v96
	;; [unrolled: 1-line block ×3, first 2 shown]
	v_fmamk_f16 v11, v88, 0x33a8, v83
	v_mul_f16_e32 v81, 0xb5ac, v84
	v_fmac_f16_e32 v83, 0xb3a8, v88
	v_add_f16_e32 v45, v90, v45
	v_mul_f16_e32 v90, 0x3b15, v84
	v_add_f16_e32 v82, v82, v97
	v_add_f16_e32 v8, v11, v8
	v_fmamk_f16 v11, v88, 0xbb7b, v81
	v_add_f16_e32 v78, v83, v78
	v_fmac_f16_e32 v81, 0x3b7b, v88
	v_fmamk_f16 v83, v88, 0xb770, v90
	v_fmac_f16_e32 v90, 0x3770, v88
	v_add_f16_e32 v11, v11, v73
	v_mul_f16_e32 v73, 0x388b, v84
	v_add_f16_e32 v79, v81, v79
	v_add_f16_e32 v81, v83, v82
	v_add_f16_e32 v82, v94, v87
	v_add_f16_e32 v86, v86, v102
	v_add_f16_e32 v80, v90, v80
	v_fmamk_f16 v83, v88, 0x3a95, v73
	v_mul_f16_e32 v84, 0xb9fd, v84
	v_fmac_f16_e32 v73, 0xba95, v88
	v_sub_f16_e32 v87, v100, v101
	v_mul_f16_e32 v90, 0xb5ac, v82
	v_add_f16_e32 v83, v83, v86
	v_fmamk_f16 v86, v88, 0x394e, v84
	v_fmac_f16_e32 v84, 0xb94e, v88
	v_add_f16_e32 v41, v73, v41
	v_fmamk_f16 v73, v87, 0x3b7b, v90
	v_mul_f16_e32 v88, 0xb9fd, v82
	v_fmac_f16_e32 v90, 0xbb7b, v87
	v_add_f16_e32 v9, v84, v9
	v_mul_f16_e32 v84, 0x3b15, v82
	v_add_f16_e32 v10, v73, v10
	v_fmamk_f16 v73, v87, 0xb94e, v88
	v_fmac_f16_e32 v88, 0x394e, v87
	v_add_f16_e32 v45, v90, v45
	v_mul_f16_e32 v90, 0x2fb7, v82
	v_add_f16_e32 v91, v92, v91
	v_add_f16_e32 v8, v73, v8
	v_fmamk_f16 v73, v87, 0xb770, v84
	v_fmac_f16_e32 v84, 0x3770, v87
	v_add_f16_e32 v78, v88, v78
	v_fmamk_f16 v88, v87, 0x3bf1, v90
	v_fmac_f16_e32 v90, 0xbbf1, v87
	v_add_f16_e32 v11, v73, v11
	v_mul_f16_e32 v73, 0xbbc4, v82
	v_add_f16_e32 v79, v84, v79
	v_add_f16_e32 v84, v93, v89
	;; [unrolled: 1-line block ×4, first 2 shown]
	v_fmamk_f16 v88, v87, 0xb3a8, v73
	v_mul_f16_e32 v82, 0x388b, v82
	v_fmac_f16_e32 v73, 0x33a8, v87
	v_sub_f16_e32 v89, v98, v99
	v_mul_f16_e32 v90, 0xb9fd, v84
	v_add_f16_e32 v86, v86, v91
	v_add_f16_e32 v83, v88, v83
	v_fmamk_f16 v88, v87, 0xba95, v82
	v_fmac_f16_e32 v82, 0x3a95, v87
	v_add_f16_e32 v41, v73, v41
	v_fmamk_f16 v73, v89, 0x394e, v90
	v_mul_f16_e32 v87, 0x2fb7, v84
	v_add_f16_e32 v86, v88, v86
	v_add_f16_e32 v9, v82, v9
	v_fmac_f16_e32 v90, 0xb94e, v89
	v_add_f16_e32 v10, v73, v10
	v_fmamk_f16 v73, v89, 0xbbf1, v87
	v_mul_f16_e32 v82, 0x388b, v84
	v_fmac_f16_e32 v87, 0x3bf1, v89
	v_mul_f16_e32 v88, 0xbbc4, v84
	v_add_f16_e32 v45, v90, v45
	v_add_f16_e32 v8, v73, v8
	v_fmamk_f16 v73, v89, 0x3a95, v82
	v_add_f16_e32 v78, v87, v78
	v_fmac_f16_e32 v82, 0xba95, v89
	v_fmamk_f16 v87, v89, 0xb3a8, v88
	v_mul_f16_e32 v90, 0x3b15, v84
	v_add_f16_e32 v11, v73, v11
	v_add_f16_e32 v51, v51, v52
	;; [unrolled: 1-line block ×4, first 2 shown]
	v_fmamk_f16 v81, v89, 0xb770, v90
	v_mul_f16_e32 v82, 0xb5ac, v84
	v_sub_f16_e32 v46, v46, v47
	v_mul_f16_e32 v47, 0xbbc4, v51
	v_fmac_f16_e32 v88, 0x33a8, v89
	v_add_f16_e32 v52, v81, v83
	v_fmamk_f16 v81, v89, 0x3b7b, v82
	v_fmac_f16_e32 v82, 0xbb7b, v89
	v_mul_f16_e32 v83, 0x3b15, v51
	v_fmac_f16_e32 v90, 0x3770, v89
	v_mul_f16_e32 v93, 0x2fb7, v51
	v_add_f16_e32 v84, v81, v86
	v_fmamk_f16 v81, v46, 0x33a8, v47
	v_add_f16_e32 v86, v82, v9
	v_fmamk_f16 v9, v46, 0xb770, v83
	v_mul_f16_e32 v82, 0xb9fd, v51
	v_fmac_f16_e32 v47, 0xb3a8, v46
	v_add_f16_e32 v87, v81, v10
	v_mul_f16_e32 v10, 0xb5ac, v51
	v_add_f16_e32 v89, v9, v8
	v_fmamk_f16 v8, v46, 0x394e, v82
	v_mul_f16_e32 v9, 0x388b, v51
	v_add_f16_e32 v80, v88, v80
	v_add_f16_e32 v41, v90, v41
	v_fmac_f16_e32 v83, 0x3770, v46
	v_fmac_f16_e32 v82, 0xb94e, v46
	v_add_f16_e32 v91, v8, v11
	v_fmamk_f16 v8, v46, 0xba95, v9
	v_fmac_f16_e32 v9, 0x3a95, v46
	v_fmamk_f16 v11, v46, 0x3b7b, v10
	v_fmac_f16_e32 v10, 0xbb7b, v46
	;; [unrolled: 2-line block ×3, first 2 shown]
	v_add_nc_u32_e32 v46, v13, v48
	v_add_f16_e32 v88, v47, v45
	v_add_nc_u32_e32 v45, v25, v68
	v_add_nc_u32_e32 v47, v21, v72
	;; [unrolled: 1-line block ×5, first 2 shown]
	v_add_f16_e32 v90, v83, v78
	v_add_f16_e32 v92, v82, v73
	;; [unrolled: 1-line block ×6, first 2 shown]
	global_wb scope:SCOPE_SE
	s_wait_dscnt 0x0
	s_barrier_signal -1
	s_barrier_wait -1
	global_inv scope:SCOPE_SE
	ds_load_u16 v9, v43
	ds_load_u16 v8, v45
	;; [unrolled: 1-line block ×3, first 2 shown]
	ds_load_u16 v82, v42 offset:1248
	ds_load_u16 v81, v42 offset:1352
	;; [unrolled: 1-line block ×7, first 2 shown]
	v_add_nc_u32_e32 v51, v32, v71
	v_add_nc_u32_e32 v52, v34, v69
	ds_load_u16 v71, v42 offset:1976
	ds_load_u16 v69, v42 offset:2080
	;; [unrolled: 1-line block ×4, first 2 shown]
	v_add_nc_u32_e32 v53, v27, v53
	ds_load_u16 v30, v46
	ds_load_u16 v27, v47
	ds_load_u16 v25, v48
	ds_load_u16 v23, v49
	ds_load_u16 v21, v50
	ds_load_u16 v19, v51
	ds_load_u16 v11, v52
	ds_load_u16 v10, v53
	ds_load_u16 v83, v44
	ds_load_u16 v79, v42 offset:2392
	v_add_f16_e32 v13, v97, v84
	v_add_f16_e32 v84, v93, v86
	global_wb scope:SCOPE_SE
	s_wait_dscnt 0x0
	s_barrier_signal -1
	s_barrier_wait -1
	global_inv scope:SCOPE_SE
	ds_store_b16 v67, v85
	ds_store_b16 v67, v87 offset:8
	ds_store_b16 v67, v89 offset:16
	;; [unrolled: 1-line block ×12, first 2 shown]
	s_and_saveexec_b32 s1, s0
	s_cbranch_execz .LBB0_21
; %bb.20:
	v_add_f16_e32 v13, v39, v77
	v_add_f16_e32 v41, v77, v6
	v_sub_f16_e32 v67, v74, v76
	v_add_f16_e32 v74, v75, v7
	v_sub_f16_e32 v65, v65, v66
	v_add_f16_e32 v13, v13, v75
	v_mul_f16_e32 v75, 0x388b, v41
	v_mul_f16_e32 v66, 0x3b15, v41
	;; [unrolled: 1-line block ×4, first 2 shown]
	v_add_f16_e32 v13, v13, v64
	v_fmamk_f16 v90, v67, 0x3a95, v75
	v_fmac_f16_e32 v75, 0xba95, v67
	v_mul_f16_e32 v77, 0xb5ac, v41
	v_mul_f16_e32 v84, 0xb9fd, v41
	v_add_f16_e32 v13, v13, v61
	v_mul_f16_e32 v41, 0xbbc4, v41
	v_mul_f16_e32 v85, 0x388b, v74
	v_fmamk_f16 v89, v67, 0x3770, v66
	v_fmamk_f16 v95, v65, 0x3b7b, v86
	v_add_f16_e32 v13, v13, v2
	v_fmac_f16_e32 v86, 0xbb7b, v65
	v_add_f16_e32 v75, v39, v75
	v_mul_f16_e32 v87, 0xbbc4, v74
	v_fmac_f16_e32 v66, 0xb770, v67
	v_add_f16_e32 v13, v13, v0
	v_fmamk_f16 v91, v67, 0x3bf1, v76
	v_fmac_f16_e32 v76, 0xbbf1, v67
	v_fmamk_f16 v92, v67, 0x3b7b, v77
	v_fmac_f16_e32 v77, 0xbb7b, v67
	v_add_f16_e32 v13, v13, v1
	v_fmamk_f16 v93, v67, 0x394e, v84
	v_fmac_f16_e32 v84, 0xb94e, v67
	v_fmamk_f16 v94, v67, 0x33a8, v41
	v_fmac_f16_e32 v41, 0xb3a8, v67
	v_add_f16_e32 v13, v13, v3
	v_fmamk_f16 v67, v65, 0x3a95, v85
	v_add_f16_e32 v89, v39, v89
	v_add_f16_e32 v75, v86, v75
	v_mul_f16_e32 v86, 0x2fb7, v74
	v_add_f16_e32 v13, v13, v4
	v_mul_f16_e32 v88, 0xb9fd, v74
	v_fmac_f16_e32 v85, 0xba95, v65
	v_add_f16_e32 v66, v39, v66
	v_add_f16_e32 v90, v39, v90
	;; [unrolled: 1-line block ×14, first 2 shown]
	v_fmamk_f16 v67, v65, 0x33a8, v87
	v_fmac_f16_e32 v87, 0xb3a8, v65
	v_fmamk_f16 v64, v65, 0xbbf1, v86
	v_mul_f16_e32 v74, 0x3b15, v74
	v_fmac_f16_e32 v86, 0x3bf1, v65
	v_sub_f16_e32 v62, v62, v63
	v_mul_f16_e32 v63, 0x2fb7, v5
	v_add_f16_e32 v66, v85, v66
	v_fmamk_f16 v85, v65, 0xb94e, v88
	v_fmac_f16_e32 v88, 0x394e, v65
	v_add_f16_e32 v76, v87, v76
	v_fmamk_f16 v87, v65, 0xb770, v74
	v_fmac_f16_e32 v74, 0x3770, v65
	v_add_f16_e32 v65, v86, v84
	v_fmamk_f16 v84, v62, 0x3bf1, v63
	v_mul_f16_e32 v86, 0xbbc4, v5
	v_add_f16_e32 v6, v7, v6
	v_add_f16_e32 v7, v95, v90
	v_add_f16_e32 v39, v74, v39
	v_add_f16_e32 v41, v84, v41
	v_fmamk_f16 v74, v62, 0x33a8, v86
	v_mul_f16_e32 v84, 0xb5ac, v5
	v_add_f16_e32 v67, v67, v91
	v_fmac_f16_e32 v63, 0xbbf1, v62
	v_add_f16_e32 v4, v61, v4
	v_add_f16_e32 v7, v74, v7
	v_fmamk_f16 v74, v62, 0xbb7b, v84
	v_add_f16_e32 v64, v64, v93
	v_fmac_f16_e32 v86, 0xb3a8, v62
	v_add_f16_e32 v63, v63, v66
	v_mul_f16_e32 v66, 0x3b15, v5
	v_add_f16_e32 v67, v74, v67
	v_mul_f16_e32 v74, 0x388b, v5
	v_mul_f16_e32 v5, 0xb9fd, v5
	v_sub_f16_e32 v59, v59, v60
	v_mul_f16_e32 v60, 0xb5ac, v4
	v_add_f16_e32 v13, v87, v13
	v_fmamk_f16 v61, v62, 0x3a95, v74
	v_fmac_f16_e32 v74, 0xba95, v62
	v_add_f16_e32 v75, v86, v75
	v_fmac_f16_e32 v84, 0x3b7b, v62
	v_fmamk_f16 v86, v62, 0xb770, v66
	v_fmac_f16_e32 v66, 0x3770, v62
	v_add_f16_e32 v61, v61, v64
	v_fmamk_f16 v64, v62, 0x394e, v5
	v_fmac_f16_e32 v5, 0xb94e, v62
	v_add_f16_e32 v62, v74, v65
	v_fmamk_f16 v65, v59, 0x3b7b, v60
	v_mul_f16_e32 v74, 0xb9fd, v4
	v_add_f16_e32 v13, v64, v13
	v_add_f16_e32 v5, v5, v39
	v_mul_f16_e32 v64, 0x3b15, v4
	v_add_f16_e32 v39, v65, v41
	v_fmamk_f16 v41, v59, 0xb94e, v74
	v_fmac_f16_e32 v60, 0xbb7b, v59
	v_add_f16_e32 v77, v88, v77
	v_fmac_f16_e32 v74, 0x394e, v59
	v_add_f16_e32 v2, v2, v3
	v_add_f16_e32 v7, v41, v7
	v_fmamk_f16 v41, v59, 0xb770, v64
	v_add_f16_e32 v60, v60, v63
	v_mul_f16_e32 v63, 0x2fb7, v4
	v_add_f16_e32 v66, v66, v77
	v_add_f16_e32 v65, v74, v75
	;; [unrolled: 1-line block ×3, first 2 shown]
	v_mul_f16_e32 v67, 0xbbc4, v4
	v_fmamk_f16 v74, v59, 0x3bf1, v63
	v_fmac_f16_e32 v63, 0xbbf1, v59
	v_mul_f16_e32 v4, 0x388b, v4
	v_sub_f16_e32 v57, v57, v58
	v_fmamk_f16 v3, v59, 0xb3a8, v67
	v_fmac_f16_e32 v67, 0x33a8, v59
	v_mul_f16_e32 v58, 0xb9fd, v2
	v_fmac_f16_e32 v64, 0x3770, v59
	v_add_f16_e32 v63, v63, v66
	v_add_f16_e32 v3, v3, v61
	v_fmamk_f16 v61, v59, 0xba95, v4
	v_fmac_f16_e32 v4, 0x3a95, v59
	v_add_f16_e32 v59, v67, v62
	v_fmamk_f16 v62, v57, 0x394e, v58
	v_mul_f16_e32 v66, 0x2fb7, v2
	v_add_f16_e32 v13, v61, v13
	v_add_f16_e32 v4, v4, v5
	v_mul_f16_e32 v61, 0x388b, v2
	v_add_f16_e32 v5, v62, v39
	v_fmamk_f16 v39, v57, 0xbbf1, v66
	v_fmac_f16_e32 v58, 0xb94e, v57
	v_add_f16_e32 v0, v0, v1
	v_fmac_f16_e32 v66, 0x3bf1, v57
	v_sub_f16_e32 v55, v55, v56
	v_add_f16_e32 v7, v39, v7
	v_fmamk_f16 v39, v57, 0x3a95, v61
	v_add_f16_e32 v58, v58, v60
	v_mul_f16_e32 v60, 0xbbc4, v2
	v_mul_f16_e32 v56, 0xbbc4, v0
	v_add_f16_e32 v62, v66, v65
	v_add_f16_e32 v39, v39, v41
	v_mul_f16_e32 v41, 0x3b15, v2
	v_mul_f16_e32 v2, 0xb5ac, v2
	v_fmac_f16_e32 v61, 0xba95, v57
	v_fmamk_f16 v65, v57, 0xb3a8, v60
	v_fmac_f16_e32 v60, 0x33a8, v57
	v_fmamk_f16 v1, v57, 0xb770, v41
	v_fmac_f16_e32 v41, 0x3770, v57
	v_add_f16_e32 v85, v85, v92
	v_mul_lo_u32 v54, v54, 52
	v_add_f16_e32 v76, v84, v76
	v_add_f16_e32 v1, v1, v3
	v_fmamk_f16 v3, v57, 0x3b7b, v2
	v_fmac_f16_e32 v2, 0xbb7b, v57
	v_add_f16_e32 v41, v41, v59
	v_fmamk_f16 v57, v55, 0x33a8, v56
	v_mul_f16_e32 v59, 0x3b15, v0
	v_add_f16_e32 v3, v3, v13
	v_add_f16_e32 v2, v2, v4
	v_mul_f16_e32 v13, 0xb9fd, v0
	v_add_f16_e32 v4, v57, v5
	v_fmamk_f16 v5, v55, 0xb770, v59
	v_add_f16_e32 v84, v86, v85
	v_fmac_f16_e32 v56, 0xb3a8, v55
	v_fmac_f16_e32 v59, 0x3770, v55
	v_mul_f16_e32 v57, 0x388b, v0
	v_add_f16_e32 v5, v5, v7
	v_fmamk_f16 v7, v55, 0x394e, v13
	v_add_f16_e32 v64, v64, v76
	v_add_f16_e32 v74, v74, v84
	;; [unrolled: 1-line block ×5, first 2 shown]
	v_fmamk_f16 v59, v55, 0xba95, v57
	v_add_f16_e32 v7, v7, v39
	v_fmac_f16_e32 v57, 0x3a95, v55
	v_mul_f16_e32 v39, 0xb5ac, v0
	v_mul_f16_e32 v0, 0x2fb7, v0
	v_or_b32_e32 v36, v54, v36
	v_add_f16_e32 v61, v61, v64
	v_add_f16_e32 v64, v65, v74
	v_fmac_f16_e32 v13, 0xb94e, v55
	v_add_f16_e32 v57, v57, v60
	v_fmamk_f16 v54, v55, 0x3b7b, v39
	v_fmac_f16_e32 v39, 0xbb7b, v55
	v_fmamk_f16 v60, v55, 0xbbf1, v0
	v_fmac_f16_e32 v0, 0x3bf1, v55
	v_lshl_add_u32 v36, v36, 1, 0
	v_add_f16_e32 v59, v59, v64
	v_add_f16_e32 v13, v13, v61
	;; [unrolled: 1-line block ×6, first 2 shown]
	ds_store_b16 v36, v6
	ds_store_b16 v36, v4 offset:8
	ds_store_b16 v36, v5 offset:16
	;; [unrolled: 1-line block ×12, first 2 shown]
.LBB0_21:
	s_wait_alu 0xfffe
	s_or_b32 exec_lo, exec_lo, s1
	v_dual_mov_b32 v13, 0 :: v_dual_and_b32 v2, 0xff, v31
	v_and_b32_e32 v3, 0xff, v33
	v_and_b32_e32 v4, 0xffff, v35
	;; [unrolled: 1-line block ×3, first 2 shown]
	s_delay_alu instid0(VALU_DEP_4)
	v_lshlrev_b64_e32 v[0:1], 2, v[12:13]
	v_and_b32_e32 v6, 0xffff, v18
	v_and_b32_e32 v57, 0xffff, v24
	;; [unrolled: 1-line block ×4, first 2 shown]
	v_mul_lo_u16 v2, 0x4f, v2
	v_and_b32_e32 v55, 0xffff, v20
	v_and_b32_e32 v56, 0xffff, v22
	v_mul_lo_u16 v3, 0x4f, v3
	v_mul_u32_u24_e32 v4, 0x4ec5, v4
	v_add_co_u32 v0, s0, s8, v0
	v_mul_u32_u24_e32 v5, 0x4ec5, v5
	v_mul_u32_u24_e32 v6, 0x4ec5, v6
	;; [unrolled: 1-line block ×5, first 2 shown]
	s_wait_alu 0xf1ff
	v_add_co_ci_u32_e64 v1, s0, s9, v1, s0
	v_lshrrev_b16 v2, 12, v2
	v_mul_u32_u24_e32 v55, 0x4ec5, v55
	v_mul_u32_u24_e32 v56, 0x4ec5, v56
	v_lshrrev_b16 v3, 12, v3
	v_lshrrev_b32_e32 v36, 20, v4
	v_lshrrev_b32_e32 v39, 20, v5
	;; [unrolled: 1-line block ×6, first 2 shown]
	global_wb scope:SCOPE_SE
	s_wait_dscnt 0x0
	s_barrier_signal -1
	s_barrier_wait -1
	global_inv scope:SCOPE_SE
	global_load_b32 v7, v[0:1], off offset:200
	v_mul_lo_u16 v2, v2, 52
	v_lshrrev_b32_e32 v64, 20, v55
	v_lshrrev_b32_e32 v56, 20, v56
	v_mul_lo_u16 v3, v3, 52
	v_mul_lo_u16 v36, v36, 52
	v_mul_lo_u16 v39, v39, 52
	v_mul_lo_u16 v41, v41, 52
	v_mul_lo_u16 v57, v57, 52
	v_mul_lo_u16 v62, v62, 52
	v_mul_lo_u16 v63, v63, 52
	v_sub_nc_u16 v2, v31, v2
	v_mul_lo_u16 v64, v64, 52
	v_mul_lo_u16 v56, v56, 52
	v_sub_nc_u16 v3, v33, v3
	v_sub_nc_u16 v36, v35, v36
	;; [unrolled: 1-line block ×7, first 2 shown]
	v_and_b32_e32 v58, 0xff, v2
	v_sub_nc_u16 v64, v20, v64
	v_sub_nc_u16 v56, v22, v56
	v_and_b32_e32 v59, 0xff, v3
	v_and_b32_e32 v36, 0xffff, v36
	;; [unrolled: 1-line block ×7, first 2 shown]
	v_lshlrev_b32_e32 v2, 2, v58
	v_and_b32_e32 v64, 0xffff, v64
	v_and_b32_e32 v65, 0xffff, v56
	v_lshlrev_b32_e32 v3, 2, v59
	v_lshlrev_b32_e32 v39, 2, v36
	v_lshlrev_b32_e32 v41, 2, v60
	v_lshlrev_b32_e32 v54, 2, v61
	v_lshlrev_b32_e32 v67, 2, v66
	v_lshlrev_b32_e32 v74, 2, v62
	v_lshlrev_b32_e32 v75, 2, v63
	v_lshlrev_b32_e32 v56, 2, v64
	v_lshlrev_b32_e32 v57, 2, v65
	s_clause 0x9
	global_load_b32 v76, v2, s[8:9] offset:200
	global_load_b32 v77, v3, s[8:9] offset:200
	;; [unrolled: 1-line block ×10, first 2 shown]
	v_mov_b32_e32 v41, v13
	v_mov_b32_e32 v39, v13
	v_lshrrev_b32_e32 v6, 21, v6
	v_lshrrev_b32_e32 v54, 21, v55
	ds_load_u16 v89, v43
	ds_load_u16 v90, v42
	ds_load_u16 v91, v42 offset:1248
	ds_load_u16 v92, v42 offset:1352
	;; [unrolled: 1-line block ×7, first 2 shown]
	ds_load_u16 v98, v45
	ds_load_u16 v99, v46
	;; [unrolled: 1-line block ×8, first 2 shown]
	ds_load_u16 v106, v42 offset:1976
	ds_load_u16 v107, v42 offset:2080
	;; [unrolled: 1-line block ×4, first 2 shown]
	v_lshlrev_b64_e32 v[2:3], 2, v[40:41]
	v_lshrrev_b32_e32 v41, 21, v5
	v_lshrrev_b32_e32 v40, 21, v4
	v_lshlrev_b64_e32 v[4:5], 2, v[38:39]
	v_mul_lo_u16 v6, 0x68, v6
	ds_load_u16 v110, v53
	ds_load_u16 v111, v44
	ds_load_u16 v112, v42 offset:2392
	v_mul_lo_u16 v39, 0x68, v41
	v_mul_lo_u16 v38, 0x68, v40
	;; [unrolled: 1-line block ×3, first 2 shown]
	v_sub_nc_u16 v6, v18, v6
	global_wb scope:SCOPE_SE
	s_wait_loadcnt_dscnt 0x0
	v_sub_nc_u16 v39, v37, v39
	v_sub_nc_u16 v38, v35, v38
	;; [unrolled: 1-line block ×3, first 2 shown]
	v_and_b32_e32 v56, 0xffff, v6
	v_lshl_add_u32 v6, v58, 1, 0
	v_and_b32_e32 v55, 0xffff, v39
	v_lshl_add_u32 v58, v60, 1, 0
	;; [unrolled: 2-line block ×3, first 2 shown]
	v_lshl_add_u32 v64, v66, 1, 0
	s_barrier_signal -1
	s_barrier_wait -1
	global_inv scope:SCOPE_SE
	v_add_co_u32 v2, s0, s8, v2
	v_and_b32_e32 v54, 0xffff, v38
	s_wait_alu 0xf1ff
	v_add_co_ci_u32_e64 v3, s0, s9, v3, s0
	v_add_co_u32 v4, s0, s8, v4
	s_wait_alu 0xf1ff
	v_add_co_ci_u32_e64 v5, s0, s9, v5, s0
	v_lshl_add_u32 v38, v59, 1, 0
	v_lshl_add_u32 v59, v61, 1, 0
	;; [unrolled: 1-line block ×3, first 2 shown]
	v_lshlrev_b32_e32 v65, 3, v54
	v_lshl_add_u32 v36, v36, 1, 0
	v_lshl_add_u32 v62, v62, 1, 0
	;; [unrolled: 1-line block ×3, first 2 shown]
	v_lshrrev_b32_e32 v39, 16, v7
	s_delay_alu instid0(VALU_DEP_1) | instskip(SKIP_3) | instid1(VALU_DEP_4)
	v_mul_f16_e32 v41, v82, v39
	v_mul_f16_e32 v40, v91, v39
	v_mul_f16_e32 v66, v92, v39
	v_mul_f16_e32 v39, v81, v39
	v_fma_f16 v41, v91, v7, -v41
	s_delay_alu instid0(VALU_DEP_4) | instskip(NEXT) | instid1(VALU_DEP_4)
	v_fmac_f16_e32 v40, v82, v7
	v_fmac_f16_e32 v66, v81, v7
	s_delay_alu instid0(VALU_DEP_4) | instskip(NEXT) | instid1(VALU_DEP_4)
	v_fma_f16 v7, v92, v7, -v39
	v_sub_f16_e32 v81, v90, v41
	s_delay_alu instid0(VALU_DEP_4) | instskip(NEXT) | instid1(VALU_DEP_4)
	v_sub_f16_e32 v39, v80, v40
	v_sub_f16_e32 v40, v83, v66
	s_delay_alu instid0(VALU_DEP_4) | instskip(NEXT) | instid1(VALU_DEP_4)
	v_sub_f16_e32 v7, v111, v7
	v_fma_f16 v90, v90, 2.0, -v81
	s_delay_alu instid0(VALU_DEP_4) | instskip(NEXT) | instid1(VALU_DEP_4)
	v_fma_f16 v80, v80, 2.0, -v39
	v_fma_f16 v83, v83, 2.0, -v40
	ds_store_b16 v42, v80
	ds_store_b16 v42, v39 offset:104
	ds_store_b16 v42, v83 offset:208
	;; [unrolled: 1-line block ×3, first 2 shown]
	v_fma_f16 v111, v111, 2.0, -v7
	v_lshrrev_b32_e32 v41, 16, v76
	v_lshrrev_b32_e32 v66, 16, v77
	;; [unrolled: 1-line block ×10, first 2 shown]
	v_mul_f16_e32 v118, v93, v41
	v_mul_f16_e32 v41, v78, v41
	;; [unrolled: 1-line block ×20, first 2 shown]
	v_fmac_f16_e32 v118, v78, v76
	v_fma_f16 v39, v93, v76, -v41
	v_fmac_f16_e32 v119, v73, v77
	v_fma_f16 v40, v94, v77, -v66
	;; [unrolled: 2-line block ×3, first 2 shown]
	v_fmac_f16_e32 v121, v68, v85
	v_fmac_f16_e32 v122, v70, v86
	;; [unrolled: 1-line block ×5, first 2 shown]
	v_fma_f16 v66, v96, v85, -v91
	v_fma_f16 v68, v97, v86, -v92
	;; [unrolled: 1-line block ×5, first 2 shown]
	v_fmac_f16_e32 v126, v34, v74
	v_fma_f16 v34, v109, v74, -v116
	v_fmac_f16_e32 v127, v79, v75
	v_fma_f16 v67, v112, v75, -v117
	v_sub_f16_e32 v71, v9, v118
	v_sub_f16_e32 v72, v89, v39
	;; [unrolled: 1-line block ×20, first 2 shown]
	v_fma_f16 v9, v9, 2.0, -v71
	v_fma_f16 v8, v8, 2.0, -v39
	;; [unrolled: 1-line block ×20, first 2 shown]
	ds_store_b16 v6, v9 offset:416
	ds_store_b16 v6, v71 offset:520
	;; [unrolled: 1-line block ×20, first 2 shown]
	global_wb scope:SCOPE_SE
	s_wait_dscnt 0x0
	s_barrier_signal -1
	s_barrier_wait -1
	global_inv scope:SCOPE_SE
	ds_load_u16 v40, v44
	ds_load_u16 v39, v43
	;; [unrolled: 1-line block ×9, first 2 shown]
	ds_load_u16 v75, v42 offset:936
	ds_load_u16 v76, v42 offset:1040
	;; [unrolled: 1-line block ×15, first 2 shown]
	global_wb scope:SCOPE_SE
	s_wait_dscnt 0x0
	s_barrier_signal -1
	s_barrier_wait -1
	global_inv scope:SCOPE_SE
	ds_store_b16 v42, v90
	ds_store_b16 v42, v81 offset:104
	ds_store_b16 v42, v111 offset:208
	ds_store_b16 v42, v7 offset:312
	ds_store_b16 v6, v82 offset:416
	ds_store_b16 v6, v72 offset:520
	ds_store_b16 v38, v83 offset:624
	ds_store_b16 v38, v73 offset:728
	ds_store_b16 v36, v84 offset:832
	ds_store_b16 v36, v74 offset:936
	ds_store_b16 v58, v85 offset:1040
	ds_store_b16 v58, v66 offset:1144
	ds_store_b16 v59, v86 offset:1248
	ds_store_b16 v59, v68 offset:1352
	ds_store_b16 v60, v87 offset:1456
	ds_store_b16 v60, v70 offset:1560
	ds_store_b16 v61, v88 offset:1664
	ds_store_b16 v61, v69 offset:1768
	ds_store_b16 v64, v89 offset:1872
	ds_store_b16 v64, v32 offset:1976
	ds_store_b16 v62, v91 offset:2080
	ds_store_b16 v62, v34 offset:2184
	ds_store_b16 v63, v92 offset:2288
	ds_store_b16 v63, v67 offset:2392
	v_mov_b32_e32 v38, v13
	global_wb scope:SCOPE_SE
	s_wait_dscnt 0x0
	s_barrier_signal -1
	s_barrier_wait -1
	global_inv scope:SCOPE_SE
	s_clause 0x2
	global_load_b64 v[58:59], v[2:3], off offset:408
	global_load_b64 v[60:61], v[4:5], off offset:408
	global_load_b64 v[62:63], v65, s[8:9] offset:408
	v_lshlrev_b32_e32 v2, 3, v55
	v_lshlrev_b32_e32 v3, 3, v56
	;; [unrolled: 1-line block ×3, first 2 shown]
	s_clause 0x2
	global_load_b64 v[64:65], v2, s[8:9] offset:408
	global_load_b64 v[66:67], v3, s[8:9] offset:408
	;; [unrolled: 1-line block ×3, first 2 shown]
	v_mov_b32_e32 v30, v13
	v_mov_b32_e32 v32, v13
	;; [unrolled: 1-line block ×4, first 2 shown]
	v_lshlrev_b64_e32 v[10:11], 2, v[37:38]
	v_lshlrev_b64_e32 v[2:3], 2, v[29:30]
	v_lshlrev_b64_e32 v[4:5], 2, v[31:32]
	v_lshlrev_b64_e32 v[6:7], 2, v[33:34]
	v_lshlrev_b64_e32 v[8:9], 2, v[35:36]
	v_lshl_add_u32 v29, v54, 1, 0
	v_lshl_add_u32 v30, v55, 1, 0
	;; [unrolled: 1-line block ×4, first 2 shown]
	ds_load_u16 v33, v44
	ds_load_u16 v34, v43
	;; [unrolled: 1-line block ×9, first 2 shown]
	ds_load_u16 v57, v42 offset:936
	ds_load_u16 v70, v42 offset:1040
	;; [unrolled: 1-line block ×15, first 2 shown]
	v_add_co_u32 v2, s0, s8, v2
	s_wait_alu 0xf1ff
	v_add_co_ci_u32_e64 v3, s0, s9, v3, s0
	v_add_co_u32 v4, s0, s8, v4
	s_wait_alu 0xf1ff
	v_add_co_ci_u32_e64 v5, s0, s9, v5, s0
	;; [unrolled: 3-line block ×5, first 2 shown]
	global_wb scope:SCOPE_SE
	s_wait_loadcnt_dscnt 0x0
	s_barrier_signal -1
	s_barrier_wait -1
	global_inv scope:SCOPE_SE
	v_lshrrev_b32_e32 v91, 16, v58
	v_lshrrev_b32_e32 v92, 16, v59
	;; [unrolled: 1-line block ×12, first 2 shown]
	v_mul_f16_e32 v112, v54, v91
	v_mul_f16_e32 v113, v71, v91
	;; [unrolled: 1-line block ×18, first 2 shown]
	v_mul_f16_e64 v128, v81, v108
	v_mul_f16_e64 v129, v89, v109
	;; [unrolled: 1-line block ×4, first 2 shown]
	v_mul_f16_e32 v102, v77, v102
	v_mul_f16_e32 v103, v97, v103
	;; [unrolled: 1-line block ×10, first 2 shown]
	v_fmac_f16_e32 v112, v71, v58
	v_fma_f16 v54, v54, v58, -v113
	v_fmac_f16_e32 v114, v94, v59
	v_fma_f16 v71, v83, v59, -v115
	;; [unrolled: 2-line block ×6, first 2 shown]
	v_fmac_f16_e32 v122, v77, v60
	v_fmac_f16_e32 v123, v97, v61
	;; [unrolled: 1-line block ×6, first 2 shown]
	v_fmac_f16_e64 v128, v80, v66
	v_fmac_f16_e64 v129, v100, v67
	;; [unrolled: 1-line block ×4, first 2 shown]
	v_fma_f16 v60, v72, v60, -v102
	v_fma_f16 v61, v86, v61, -v103
	;; [unrolled: 1-line block ×10, first 2 shown]
	v_add_f16_e32 v72, v112, v114
	v_sub_f16_e32 v73, v54, v71
	v_add_f16_e32 v74, v56, v54
	v_add_f16_e32 v54, v54, v71
	v_add_f16_e32 v78, v116, v118
	v_sub_f16_e32 v79, v57, v75
	v_add_f16_e32 v80, v33, v57
	v_add_f16_e32 v57, v57, v75
	;; [unrolled: 4-line block ×3, first 2 shown]
	v_add_f16_e32 v88, v122, v123
	v_add_f16_e32 v93, v124, v125
	;; [unrolled: 1-line block ×3, first 2 shown]
	v_add_f16_e64 v103, v128, v129
	v_add_f16_e64 v108, v130, v131
	v_add_f16_e32 v70, v41, v112
	v_sub_f16_e32 v89, v60, v61
	v_add_f16_e32 v90, v35, v60
	v_add_f16_e32 v60, v60, v61
	v_sub_f16_e32 v94, v62, v63
	v_add_f16_e32 v95, v36, v62
	;; [unrolled: 3-line block ×5, first 2 shown]
	v_add_f16_e32 v68, v68, v69
	v_sub_f16_e32 v76, v112, v114
	v_fmac_f16_e32 v41, -0.5, v72
	v_fmac_f16_e32 v56, -0.5, v54
	v_add_f16_e32 v77, v40, v116
	v_sub_f16_e32 v81, v116, v118
	v_add_f16_e32 v82, v39, v120
	v_sub_f16_e32 v86, v120, v121
	v_add_f16_e32 v87, v27, v122
	v_add_f16_e32 v92, v25, v124
	;; [unrolled: 1-line block ×3, first 2 shown]
	v_add_f16_e64 v102, v21, v128
	v_add_f16_e64 v107, v19, v130
	v_fmac_f16_e32 v40, -0.5, v78
	v_fmac_f16_e32 v33, -0.5, v57
	;; [unrolled: 1-line block ×9, first 2 shown]
	v_sub_f16_e32 v91, v122, v123
	v_sub_f16_e32 v96, v124, v125
	;; [unrolled: 1-line block ×3, first 2 shown]
	v_sub_f16_e64 v106, v128, v129
	v_sub_f16_e64 v111, v130, v131
	v_add_f16_e32 v70, v70, v114
	v_add_f16_e32 v71, v74, v71
	v_fmac_f16_e32 v35, -0.5, v60
	v_fmac_f16_e32 v36, -0.5, v62
	;; [unrolled: 1-line block ×5, first 2 shown]
	v_fmamk_f16 v68, v73, 0xbaee, v41
	v_fmac_f16_e32 v41, 0x3aee, v73
	v_fmamk_f16 v73, v76, 0x3aee, v56
	v_fmac_f16_e32 v56, 0xbaee, v76
	v_add_f16_e32 v54, v77, v118
	v_add_f16_e32 v72, v80, v75
	;; [unrolled: 1-line block ×6, first 2 shown]
	v_add_f16_e64 v64, v102, v129
	v_add_f16_e64 v66, v107, v131
	v_fmamk_f16 v74, v79, 0xbaee, v40
	v_fmac_f16_e32 v40, 0x3aee, v79
	v_fmamk_f16 v75, v81, 0x3aee, v33
	v_fmac_f16_e32 v33, 0xbaee, v81
	v_fmamk_f16 v76, v84, 0xbaee, v39
	v_fmac_f16_e32 v39, 0x3aee, v84
	v_fmamk_f16 v77, v86, 0x3aee, v34
	v_fmac_f16_e32 v34, 0xbaee, v86
	v_fmamk_f16 v78, v89, 0xbaee, v27
	v_fmac_f16_e32 v27, 0x3aee, v89
	v_fmamk_f16 v80, v94, 0xbaee, v25
	v_fmac_f16_e32 v25, 0x3aee, v94
	v_fmamk_f16 v82, v99, 0xbaee, v23
	v_fmac_f16_e32 v23, 0x3aee, v99
	v_fmamk_f16 v84, v104, 0xbaee, v21
	v_fmac_f16_e32 v21, 0x3aee, v104
	v_fmamk_f16 v86, v109, 0xbaee, v19
	v_fmac_f16_e32 v19, 0x3aee, v109
	v_add_f16_e32 v59, v85, v59
	v_add_f16_e32 v61, v90, v61
	;; [unrolled: 1-line block ×6, first 2 shown]
	v_fmamk_f16 v79, v91, 0x3aee, v35
	v_fmac_f16_e32 v35, 0xbaee, v91
	v_fmamk_f16 v81, v96, 0x3aee, v36
	v_fmac_f16_e32 v36, 0xbaee, v96
	;; [unrolled: 2-line block ×5, first 2 shown]
	ds_store_b16 v42, v70
	ds_store_b16 v42, v68 offset:208
	ds_store_b16 v42, v41 offset:416
	ds_store_b16 v44, v54
	ds_store_b16 v44, v74 offset:208
	ds_store_b16 v44, v40 offset:416
	;; [unrolled: 1-line block ×20, first 2 shown]
	global_wb scope:SCOPE_SE
	s_wait_dscnt 0x0
	s_barrier_signal -1
	s_barrier_wait -1
	global_inv scope:SCOPE_SE
	ds_load_u16 v19, v43
	ds_load_u16 v21, v45
	;; [unrolled: 1-line block ×3, first 2 shown]
	ds_load_u16 v25, v42 offset:1248
	ds_load_u16 v27, v42 offset:1352
	;; [unrolled: 1-line block ×11, first 2 shown]
	ds_load_u16 v66, v46
	ds_load_u16 v68, v47
	;; [unrolled: 1-line block ×9, first 2 shown]
	ds_load_u16 v86, v42 offset:2392
	global_wb scope:SCOPE_SE
	s_wait_dscnt 0x0
	s_barrier_signal -1
	s_barrier_wait -1
	global_inv scope:SCOPE_SE
	ds_store_b16 v42, v71
	ds_store_b16 v42, v73 offset:208
	ds_store_b16 v42, v56 offset:416
	ds_store_b16 v44, v72
	ds_store_b16 v44, v75 offset:208
	ds_store_b16 v44, v33 offset:416
	ds_store_b16 v42, v59 offset:624
	ds_store_b16 v42, v77 offset:832
	ds_store_b16 v42, v34 offset:1040
	ds_store_b16 v44, v61 offset:624
	ds_store_b16 v44, v79 offset:832
	ds_store_b16 v44, v35 offset:1040
	ds_store_b16 v29, v63 offset:1248
	ds_store_b16 v29, v81 offset:1456
	ds_store_b16 v29, v36 offset:1664
	ds_store_b16 v30, v65 offset:1248
	ds_store_b16 v30, v83 offset:1456
	ds_store_b16 v30, v37 offset:1664
	ds_store_b16 v31, v67 offset:1872
	ds_store_b16 v31, v85 offset:2080
	ds_store_b16 v31, v38 offset:2288
	ds_store_b16 v32, v69 offset:1872
	ds_store_b16 v32, v87 offset:2080
	ds_store_b16 v32, v55 offset:2288
	global_wb scope:SCOPE_SE
	s_wait_dscnt 0x0
	s_barrier_signal -1
	s_barrier_wait -1
	global_inv scope:SCOPE_SE
	s_clause 0x5
	global_load_b32 v29, v[0:1], off offset:1240
	global_load_b32 v30, v[2:3], off offset:1240
	;; [unrolled: 1-line block ×6, first 2 shown]
	ds_load_u16 v35, v43
	ds_load_u16 v36, v42
	ds_load_u16 v37, v42 offset:1248
	ds_load_u16 v38, v42 offset:1352
	;; [unrolled: 1-line block ×7, first 2 shown]
	ds_load_u16 v65, v45
	ds_load_u16 v67, v46
	;; [unrolled: 1-line block ×8, first 2 shown]
	ds_load_u16 v79, v42 offset:1976
	ds_load_u16 v81, v42 offset:2080
	;; [unrolled: 1-line block ×4, first 2 shown]
	ds_load_u16 v87, v53
	ds_load_u16 v88, v44
	ds_load_u16 v89, v42 offset:2392
	global_wb scope:SCOPE_SE
	s_wait_loadcnt_dscnt 0x0
	s_barrier_signal -1
	s_barrier_wait -1
	global_inv scope:SCOPE_SE
	v_lshrrev_b32_e32 v90, 16, v29
	v_lshrrev_b32_e32 v91, 16, v30
	v_lshrrev_b32_e32 v92, 16, v31
	v_lshrrev_b32_e32 v93, 16, v32
	v_lshrrev_b32_e32 v94, 16, v33
	v_lshrrev_b32_e32 v95, 16, v34
	v_mul_f16_e32 v96, v37, v90
	v_mul_f16_e32 v98, v38, v91
	;; [unrolled: 1-line block ×22, first 2 shown]
	v_fmac_f16_e32 v96, v25, v29
	v_mul_f16_e32 v95, v86, v95
	v_fmac_f16_e32 v98, v27, v30
	v_mul_f16_e32 v90, v57, v90
	v_fma_f16 v25, v37, v29, -v97
	v_fma_f16 v27, v38, v30, -v99
	v_fmac_f16_e32 v100, v39, v31
	v_fma_f16 v37, v55, v31, -v101
	v_fmac_f16_e32 v102, v40, v32
	;; [unrolled: 2-line block ×5, first 2 shown]
	v_fmac_f16_e32 v109, v58, v30
	v_fma_f16 v30, v79, v30, -v91
	v_fmac_f16_e32 v110, v60, v31
	v_fma_f16 v31, v81, v31, -v92
	;; [unrolled: 2-line block ×4, first 2 shown]
	v_fmac_f16_e32 v113, v86, v34
	v_sub_f16_e32 v41, v23, v96
	v_fma_f16 v34, v89, v34, -v95
	v_sub_f16_e32 v54, v84, v98
	v_fma_f16 v29, v63, v29, -v90
	v_sub_f16_e32 v25, v36, v25
	v_sub_f16_e32 v27, v88, v27
	;; [unrolled: 1-line block ×20, first 2 shown]
	v_fma_f16 v23, v23, 2.0, -v41
	v_sub_f16_e32 v92, v87, v34
	v_fma_f16 v34, v84, 2.0, -v54
	v_fma_f16 v93, v36, 2.0, -v25
	;; [unrolled: 1-line block ×15, first 2 shown]
	ds_store_b16 v42, v23
	ds_store_b16 v42, v41 offset:624
	ds_store_b16 v44, v34
	ds_store_b16 v44, v54 offset:624
	ds_store_b16 v43, v19
	ds_store_b16 v43, v55 offset:624
	ds_store_b16 v45, v21
	ds_store_b16 v45, v37 offset:624
	ds_store_b16 v46, v35
	ds_store_b16 v46, v38 offset:624
	ds_store_b16 v47, v36
	ds_store_b16 v47, v39 offset:624
	ds_store_b16 v42, v57 offset:1248
	ds_store_b16 v42, v40 offset:1872
	;; [unrolled: 1-line block ×12, first 2 shown]
	global_wb scope:SCOPE_SE
	s_wait_dscnt 0x0
	s_barrier_signal -1
	s_barrier_wait -1
	global_inv scope:SCOPE_SE
	ds_load_u16 v54, v43
	ds_load_u16 v55, v45
	ds_load_u16 v41, v42
	ds_load_u16 v60, v42 offset:1248
	ds_load_u16 v61, v42 offset:1352
	;; [unrolled: 1-line block ×11, first 2 shown]
	ds_load_u16 v57, v46
	ds_load_u16 v59, v47
	;; [unrolled: 1-line block ×9, first 2 shown]
	ds_load_u16 v56, v42 offset:2392
	v_sub_f16_e32 v29, v71, v29
	v_fma_f16 v66, v67, 2.0, -v83
	v_fma_f16 v67, v69, 2.0, -v85
	;; [unrolled: 1-line block ×8, first 2 shown]
	global_wb scope:SCOPE_SE
	s_wait_dscnt 0x0
	s_barrier_signal -1
	s_barrier_wait -1
	global_inv scope:SCOPE_SE
	ds_store_b16 v42, v93
	ds_store_b16 v42, v25 offset:624
	ds_store_b16 v44, v84
	ds_store_b16 v44, v27 offset:624
	;; [unrolled: 2-line block ×6, first 2 shown]
	ds_store_b16 v42, v68 offset:1248
	ds_store_b16 v42, v29 offset:1872
	;; [unrolled: 1-line block ×12, first 2 shown]
	global_wb scope:SCOPE_SE
	s_wait_dscnt 0x0
	s_barrier_signal -1
	s_barrier_wait -1
	global_inv scope:SCOPE_SE
	s_and_saveexec_b32 s0, vcc_lo
	s_cbranch_execz .LBB0_23
; %bb.22:
	s_clause 0x5
	global_load_b32 v66, v[10:11], off offset:2488
	global_load_b32 v67, v[8:9], off offset:2488
	;; [unrolled: 1-line block ×6, first 2 shown]
	v_mov_b32_e32 v29, v13
	v_mov_b32_e32 v27, v13
	;; [unrolled: 1-line block ×5, first 2 shown]
	v_lshlrev_b64_e32 v[0:1], 2, v[28:29]
	v_lshlrev_b64_e32 v[2:3], 2, v[26:27]
	;; [unrolled: 1-line block ×4, first 2 shown]
	v_mov_b32_e32 v19, v13
	v_lshlrev_b64_e32 v[8:9], 2, v[20:21]
	v_add_co_u32 v0, vcc_lo, s8, v0
	s_wait_alu 0xfffd
	v_add_co_ci_u32_e32 v1, vcc_lo, s9, v1, vcc_lo
	v_add_co_u32 v2, vcc_lo, s8, v2
	s_wait_alu 0xfffd
	v_add_co_ci_u32_e32 v3, vcc_lo, s9, v3, vcc_lo
	;; [unrolled: 3-line block ×3, first 2 shown]
	v_lshlrev_b64_e32 v[10:11], 2, v[18:19]
	v_add_co_u32 v6, vcc_lo, s8, v6
	s_wait_alu 0xfffd
	v_add_co_ci_u32_e32 v7, vcc_lo, s9, v7, vcc_lo
	v_add_co_u32 v8, vcc_lo, s8, v8
	s_wait_alu 0xfffd
	v_add_co_ci_u32_e32 v9, vcc_lo, s9, v9, vcc_lo
	;; [unrolled: 3-line block ×3, first 2 shown]
	s_clause 0x5
	global_load_b32 v72, v[0:1], off offset:2488
	global_load_b32 v73, v[2:3], off offset:2488
	;; [unrolled: 1-line block ×6, first 2 shown]
	v_add_nc_u32_e32 v7, 52, v12
	v_mul_lo_u32 v4, s3, v16
	v_mul_lo_u32 v5, s2, v17
	v_mad_co_u64_u32 v[0:1], null, s2, v16, 0
	v_lshrrev_b32_e32 v6, 4, v12
	v_add_nc_u32_e32 v8, 0x68, v12
	v_add_nc_u32_e32 v9, 0x9c, v12
	;; [unrolled: 1-line block ×3, first 2 shown]
	v_lshrrev_b32_e32 v13, 4, v7
	v_lshlrev_b64_e32 v[2:3], 2, v[14:15]
	v_mul_hi_u32 v6, 0x1a41a41b, v6
	v_lshrrev_b32_e32 v14, 4, v8
	v_add_nc_u32_e32 v11, 0x104, v12
	v_lshrrev_b32_e32 v15, 4, v9
	v_lshrrev_b32_e32 v16, 4, v10
	v_add3_u32 v1, v1, v5, v4
	v_mul_hi_u32 v4, 0x1a41a41b, v13
	v_mul_hi_u32 v5, 0x1a41a41b, v14
	v_lshrrev_b32_e32 v17, 4, v11
	v_mul_hi_u32 v13, 0x1a41a41b, v15
	v_mul_hi_u32 v14, 0x1a41a41b, v16
	v_lshrrev_b32_e32 v6, 2, v6
	v_lshlrev_b64_e32 v[0:1], 2, v[0:1]
	v_mul_hi_u32 v15, 0x1a41a41b, v17
	v_lshrrev_b32_e32 v16, 2, v4
	v_lshrrev_b32_e32 v17, 2, v5
	v_mul_u32_u24_e32 v6, 0x270, v6
	v_lshrrev_b32_e32 v13, 2, v13
	v_lshrrev_b32_e32 v14, 2, v14
	v_mul_u32_u24_e32 v4, 0x270, v16
	v_mul_u32_u24_e32 v5, 0x270, v17
	v_sub_nc_u32_e32 v18, v12, v6
	v_lshrrev_b32_e32 v15, 2, v15
	v_mul_u32_u24_e32 v6, 0x270, v13
	v_mul_u32_u24_e32 v19, 0x270, v14
	v_add_co_u32 v0, vcc_lo, s6, v0
	v_sub_nc_u32_e32 v7, v7, v4
	s_wait_alu 0xfffd
	v_add_co_ci_u32_e32 v1, vcc_lo, s7, v1, vcc_lo
	v_add_nc_u32_e32 v24, 0x270, v18
	v_sub_nc_u32_e32 v8, v8, v5
	v_mul_u32_u24_e32 v20, 0x270, v15
	v_sub_nc_u32_e32 v6, v9, v6
	v_sub_nc_u32_e32 v9, v10, v19
	v_add_co_u32 v0, vcc_lo, v0, v2
	v_mad_u32_u24 v26, 0x4e0, v16, v7
	s_wait_alu 0xfffd
	v_add_co_ci_u32_e32 v1, vcc_lo, v1, v3, vcc_lo
	v_mad_co_u64_u32 v[2:3], null, s16, v18, 0
	v_mad_co_u64_u32 v[4:5], null, s16, v24, 0
	v_mad_u32_u24 v27, 0x4e0, v17, v8
	v_sub_nc_u32_e32 v10, v11, v20
	v_mad_u32_u24 v28, 0x4e0, v13, v6
	v_mad_u32_u24 v29, 0x4e0, v14, v9
	v_mad_co_u64_u32 v[6:7], null, s16, v26, 0
	ds_load_u16 v53, v53
	ds_load_u16 v78, v43
	;; [unrolled: 1-line block ×3, first 2 shown]
	ds_load_u16 v80, v42 offset:2392
	ds_load_u16 v81, v42 offset:2288
	;; [unrolled: 1-line block ×5, first 2 shown]
	ds_load_u16 v52, v52
	ds_load_u16 v51, v51
	;; [unrolled: 1-line block ×8, first 2 shown]
	ds_load_u16 v85, v42 offset:1872
	ds_load_u16 v86, v42 offset:1768
	ds_load_u16 v87, v42 offset:1664
	ds_load_u16 v88, v42 offset:1560
	ds_load_u16 v89, v42 offset:1456
	ds_load_u16 v90, v42 offset:1352
	ds_load_u16 v91, v42 offset:1248
	ds_load_u16 v92, v42
	v_add_nc_u32_e32 v42, 0x270, v26
	v_mad_co_u64_u32 v[8:9], null, s16, v27, 0
	v_mad_u32_u24 v94, 0x4e0, v15, v10
	v_mad_co_u64_u32 v[10:11], null, s16, v28, 0
	v_mad_co_u64_u32 v[13:14], null, s16, v29, 0
	;; [unrolled: 1-line block ×3, first 2 shown]
	v_add_nc_u32_e32 v43, 0x270, v27
	v_add_nc_u32_e32 v44, 0x270, v28
	;; [unrolled: 1-line block ×3, first 2 shown]
	v_mov_b32_e32 v3, v5
	v_mad_co_u64_u32 v[16:17], null, s16, v42, 0
	v_mov_b32_e32 v5, v7
	v_mov_b32_e32 v7, v9
	v_mad_co_u64_u32 v[18:19], null, s16, v43, 0
	v_mad_co_u64_u32 v[20:21], null, s16, v44, 0
	;; [unrolled: 1-line block ×4, first 2 shown]
	v_mov_b32_e32 v9, v11
	v_mov_b32_e32 v11, v14
	;; [unrolled: 1-line block ×3, first 2 shown]
	v_mad_co_u64_u32 v[14:15], null, s17, v26, v[5:6]
	v_mov_b32_e32 v15, v17
	v_mad_co_u64_u32 v[25:26], null, s17, v27, v[7:8]
	v_mad_co_u64_u32 v[26:27], null, s17, v28, v[9:10]
	;; [unrolled: 1-line block ×3, first 2 shown]
	v_mov_b32_e32 v7, v19
	v_mov_b32_e32 v9, v21
	;; [unrolled: 1-line block ×4, first 2 shown]
	v_mad_co_u64_u32 v[23:24], null, s17, v42, v[15:16]
	v_mad_co_u64_u32 v[28:29], null, s17, v43, v[7:8]
	;; [unrolled: 1-line block ×3, first 2 shown]
	v_dual_mov_b32 v7, v14 :: v_dual_mov_b32 v14, v27
	v_lshlrev_b64_e32 v[2:3], 2, v[2:3]
	v_mad_co_u64_u32 v[43:44], null, s17, v95, v[11:12]
	v_mov_b32_e32 v9, v25
	v_mov_b32_e32 v11, v26
	;; [unrolled: 1-line block ×3, first 2 shown]
	v_lshlrev_b64_e32 v[4:5], 2, v[4:5]
	v_add_co_u32 v2, vcc_lo, v0, v2
	v_lshlrev_b64_e32 v[6:7], 2, v[6:7]
	v_mov_b32_e32 v21, v42
	s_wait_alu 0xfffd
	v_add_co_ci_u32_e32 v3, vcc_lo, v1, v3, vcc_lo
	v_lshlrev_b64_e32 v[8:9], 2, v[8:9]
	v_add_co_u32 v4, vcc_lo, v0, v4
	s_wait_alu 0xfffd
	v_add_co_ci_u32_e32 v5, vcc_lo, v1, v5, vcc_lo
	v_lshlrev_b64_e32 v[10:11], 2, v[10:11]
	v_add_co_u32 v6, vcc_lo, v0, v6
	v_mov_b32_e32 v19, v28
	s_wait_alu 0xfffd
	v_add_co_ci_u32_e32 v7, vcc_lo, v1, v7, vcc_lo
	v_lshlrev_b64_e32 v[15:16], 2, v[16:17]
	v_add_co_u32 v8, vcc_lo, v0, v8
	s_wait_alu 0xfffd
	v_add_co_ci_u32_e32 v9, vcc_lo, v1, v9, vcc_lo
	v_lshlrev_b64_e32 v[17:18], 2, v[18:19]
	v_add_co_u32 v10, vcc_lo, v0, v10
	;; [unrolled: 4-line block ×3, first 2 shown]
	s_wait_alu 0xfffd
	v_add_co_ci_u32_e32 v16, vcc_lo, v1, v16, vcc_lo
	v_add_nc_u32_e32 v93, 0x138, v12
	v_add_co_u32 v17, vcc_lo, v0, v17
	s_wait_alu 0xfffd
	v_add_co_ci_u32_e32 v18, vcc_lo, v1, v18, vcc_lo
	v_add_co_u32 v19, vcc_lo, v0, v19
	s_wait_alu 0xfffd
	v_add_co_ci_u32_e32 v20, vcc_lo, v1, v20, vcc_lo
	v_lshlrev_b64_e32 v[13:14], 2, v[13:14]
	s_wait_loadcnt 0xb
	v_lshrrev_b32_e32 v21, 16, v66
	s_wait_loadcnt 0xa
	v_lshrrev_b32_e32 v23, 16, v67
	;; [unrolled: 2-line block ×6, first 2 shown]
	s_wait_dscnt 0x5
	v_mul_f16_e32 v29, v23, v87
	v_mul_f16_e32 v23, v64, v23
	s_wait_dscnt 0x4
	v_mul_f16_e32 v42, v24, v88
	s_wait_dscnt 0x3
	;; [unrolled: 2-line block ×3, first 2 shown]
	v_mul_f16_e32 v96, v27, v91
	v_mul_f16_e32 v27, v60, v27
	;; [unrolled: 1-line block ×6, first 2 shown]
	v_fmac_f16_e32 v96, v60, v71
	v_fma_f16 v27, v71, v91, -v27
	v_fma_f16 v23, v67, v87, -v23
	v_fmac_f16_e32 v42, v63, v68
	v_fmac_f16_e32 v44, v62, v69
	;; [unrolled: 1-line block ×3, first 2 shown]
	v_fma_f16 v26, v70, v90, -v26
	v_fma_f16 v25, v69, v89, -v25
	;; [unrolled: 1-line block ×3, first 2 shown]
	v_sub_f16_e32 v61, v41, v96
	s_wait_dscnt 0x0
	v_sub_f16_e32 v27, v92, v27
	v_sub_f16_e32 v60, v46, v23
	;; [unrolled: 1-line block ×8, first 2 shown]
	v_fma_f16 v41, v41, 2.0, -v61
	v_fma_f16 v70, v92, 2.0, -v27
	;; [unrolled: 1-line block ×8, first 2 shown]
	v_pack_b32_f16 v41, v41, v70
	v_pack_b32_f16 v27, v61, v27
	;; [unrolled: 1-line block ×3, first 2 shown]
	v_fmac_f16_e32 v29, v64, v67
	v_pack_b32_f16 v26, v44, v26
	v_pack_b32_f16 v54, v54, v68
	v_pack_b32_f16 v25, v42, v25
	v_pack_b32_f16 v23, v23, v24
	v_pack_b32_f16 v45, v55, v45
	s_clause 0x7
	global_store_b32 v[2:3], v41, off
	global_store_b32 v[4:5], v27, off
	global_store_b32 v[6:7], v58, off
	global_store_b32 v[15:16], v26, off
	global_store_b32 v[8:9], v54, off
	global_store_b32 v[17:18], v25, off
	global_store_b32 v[10:11], v45, off
	global_store_b32 v[19:20], v23, off
	v_lshrrev_b32_e32 v4, 4, v93
	v_sub_f16_e32 v29, v57, v29
	v_mov_b32_e32 v23, v43
	v_add_nc_u32_e32 v43, 0x270, v94
	v_fma_f16 v46, v46, 2.0, -v60
	v_mul_hi_u32 v8, 0x1a41a41b, v4
	v_fma_f16 v57, v57, 2.0, -v29
	v_mad_co_u64_u32 v[2:3], null, s16, v94, 0
	v_mad_co_u64_u32 v[4:5], null, s16, v43, 0
	s_delay_alu instid0(VALU_DEP_3)
	v_pack_b32_f16 v45, v57, v46
	v_add_co_u32 v6, vcc_lo, v0, v13
	v_lshrrev_b32_e32 v46, 2, v8
	v_lshlrev_b64_e32 v[8:9], 2, v[22:23]
	s_wait_alu 0xfffd
	v_add_co_ci_u32_e32 v7, vcc_lo, v1, v14, vcc_lo
	v_mad_co_u64_u32 v[10:11], null, s17, v94, v[3:4]
	v_mov_b32_e32 v3, v5
	v_mul_u32_u24_e32 v5, 0x270, v46
	v_add_co_u32 v8, vcc_lo, v0, v8
	s_wait_alu 0xfffd
	v_add_co_ci_u32_e32 v9, vcc_lo, v1, v9, vcc_lo
	s_delay_alu instid0(VALU_DEP_3) | instskip(SKIP_3) | instid1(VALU_DEP_4)
	v_sub_nc_u32_e32 v5, v93, v5
	v_mad_co_u64_u32 v[13:14], null, s17, v43, v[3:4]
	v_pack_b32_f16 v11, v29, v60
	v_dual_mov_b32 v3, v10 :: v_dual_add_nc_u32 v22, 0x16c, v12
	v_mad_u32_u24 v10, 0x4e0, v46, v5
	v_mul_f16_e32 v28, v21, v86
	v_mul_f16_e32 v21, v65, v21
	s_clause 0x1
	global_store_b32 v[6:7], v45, off
	global_store_b32 v[8:9], v11, off
	v_lshrrev_b32_e32 v8, 4, v22
	v_mov_b32_e32 v5, v13
	v_add_nc_u32_e32 v13, 0x270, v10
	v_fmac_f16_e32 v28, v65, v66
	v_fma_f16 v21, v66, v86, -v21
	v_mad_co_u64_u32 v[6:7], null, s16, v10, 0
	v_mul_hi_u32 v11, 0x1a41a41b, v8
	v_mad_co_u64_u32 v[8:9], null, s16, v13, 0
	v_sub_f16_e32 v28, v59, v28
	v_sub_f16_e32 v21, v47, v21
	v_lshlrev_b64_e32 v[2:3], 2, v[2:3]
	v_lshlrev_b64_e32 v[4:5], 2, v[4:5]
	s_wait_loadcnt 0x1
	v_lshrrev_b32_e32 v66, 16, v76
	v_lshrrev_b32_e32 v29, 2, v11
	v_mad_co_u64_u32 v[10:11], null, s17, v10, v[7:8]
	v_mov_b32_e32 v7, v9
	v_fma_f16 v59, v59, 2.0, -v28
	v_fma_f16 v47, v47, 2.0, -v21
	v_add_co_u32 v2, vcc_lo, v0, v2
	s_wait_alu 0xfffd
	v_add_co_ci_u32_e32 v3, vcc_lo, v1, v3, vcc_lo
	v_mul_u32_u24_e32 v9, 0x270, v29
	v_add_co_u32 v4, vcc_lo, v0, v4
	v_mad_co_u64_u32 v[13:14], null, s17, v13, v[7:8]
	v_pack_b32_f16 v23, v59, v47
	v_add_nc_u32_e32 v14, 0x1a0, v12
	s_wait_alu 0xfffd
	v_add_co_ci_u32_e32 v5, vcc_lo, v1, v5, vcc_lo
	v_pack_b32_f16 v11, v28, v21
	s_wait_loadcnt 0x0
	v_lshrrev_b32_e32 v67, 16, v77
	v_sub_nc_u32_e32 v9, v22, v9
	s_clause 0x1
	global_store_b32 v[2:3], v23, off
	global_store_b32 v[4:5], v11, off
	v_lshrrev_b32_e32 v11, 4, v14
	v_lshrrev_b32_e32 v63, 16, v73
	v_mul_f16_e32 v71, v66, v84
	v_mul_f16_e32 v66, v37, v66
	;; [unrolled: 1-line block ×4, first 2 shown]
	v_mov_b32_e32 v7, v10
	v_mad_u32_u24 v10, 0x4e0, v29, v9
	v_mul_hi_u32 v11, 0x1a41a41b, v11
	v_mov_b32_e32 v9, v13
	v_mul_f16_e32 v44, v63, v81
	v_fmac_f16_e32 v71, v37, v76
	v_fma_f16 v37, v76, v84, -v66
	v_fmac_f16_e32 v78, v36, v77
	v_fma_f16 v36, v77, v85, -v67
	v_mad_co_u64_u32 v[4:5], null, s16, v10, 0
	v_lshlrev_b64_e32 v[2:3], 2, v[6:7]
	v_lshlrev_b64_e32 v[6:7], 2, v[8:9]
	v_fmac_f16_e32 v44, v40, v73
	v_sub_f16_e32 v27, v49, v37
	v_sub_f16_e32 v37, v30, v78
	;; [unrolled: 1-line block ×3, first 2 shown]
	v_lshrrev_b32_e32 v22, 2, v11
	v_add_nc_u32_e32 v21, 0x270, v10
	v_mad_co_u64_u32 v[10:11], null, s17, v10, v[5:6]
	v_sub_f16_e32 v18, v34, v44
	v_fma_f16 v30, v30, 2.0, -v37
	v_fma_f16 v44, v48, 2.0, -v36
	v_add_co_u32 v2, vcc_lo, v0, v2
	v_mul_u32_u24_e32 v11, 0x270, v22
	v_mad_co_u64_u32 v[8:9], null, s16, v21, 0
	s_wait_alu 0xfffd
	v_add_co_ci_u32_e32 v3, vcc_lo, v1, v3, vcc_lo
	v_add_co_u32 v6, vcc_lo, v0, v6
	v_pack_b32_f16 v13, v30, v44
	s_wait_alu 0xfffd
	v_add_co_ci_u32_e32 v7, vcc_lo, v1, v7, vcc_lo
	v_pack_b32_f16 v23, v37, v36
	v_sub_nc_u32_e32 v11, v14, v11
	v_dual_mov_b32 v5, v10 :: v_dual_add_nc_u32 v14, 0x1d4, v12
	v_mad_co_u64_u32 v[9:10], null, s17, v21, v[9:10]
	global_store_b32 v[2:3], v13, off
	v_mad_u32_u24 v10, 0x4e0, v22, v11
	global_store_b32 v[6:7], v23, off
	v_lshrrev_b32_e32 v6, 4, v14
	v_lshrrev_b32_e32 v62, 16, v72
	v_lshlrev_b64_e32 v[2:3], 2, v[4:5]
	v_mad_co_u64_u32 v[4:5], null, s16, v10, 0
	s_delay_alu instid0(VALU_DEP_4) | instskip(NEXT) | instid1(VALU_DEP_4)
	v_mul_hi_u32 v11, 0x1a41a41b, v6
	v_mul_f16_e32 v42, v56, v62
	v_lshlrev_b64_e32 v[6:7], 2, v[8:9]
	v_sub_f16_e32 v26, v31, v71
	v_add_nc_u32_e32 v21, 0x270, v10
	v_add_co_u32 v2, vcc_lo, v0, v2
	v_fma_f16 v42, v72, v80, -v42
	v_lshrrev_b32_e32 v11, 2, v11
	v_mad_co_u64_u32 v[8:9], null, s17, v10, v[5:6]
	v_fma_f16 v31, v31, 2.0, -v26
	s_delay_alu instid0(VALU_DEP_4)
	v_sub_f16_e32 v17, v53, v42
	v_fma_f16 v42, v49, 2.0, -v27
	v_mul_u32_u24_e32 v22, 0x270, v11
	v_mad_co_u64_u32 v[9:10], null, s16, v21, 0
	s_wait_alu 0xfffd
	v_add_co_ci_u32_e32 v3, vcc_lo, v1, v3, vcc_lo
	v_pack_b32_f16 v13, v31, v42
	v_mov_b32_e32 v5, v8
	v_sub_nc_u32_e32 v8, v14, v22
	v_add_co_u32 v6, vcc_lo, v0, v6
	global_store_b32 v[2:3], v13, off
	v_add_nc_u32_e32 v13, 0x208, v12
	v_lshlrev_b64_e32 v[3:4], 2, v[4:5]
	s_wait_alu 0xfffd
	v_add_co_ci_u32_e32 v7, vcc_lo, v1, v7, vcc_lo
	v_pack_b32_f16 v23, v26, v27
	v_mov_b32_e32 v2, v10
	v_mad_u32_u24 v11, 0x4e0, v11, v8
	v_lshrrev_b32_e32 v64, 16, v74
	v_lshrrev_b32_e32 v65, 16, v75
	;; [unrolled: 1-line block ×3, first 2 shown]
	global_store_b32 v[6:7], v23, off
	v_mad_co_u64_u32 v[5:6], null, s17, v21, v[2:3]
	v_mad_co_u64_u32 v[6:7], null, s16, v11, 0
	v_mul_f16_e32 v24, v62, v80
	v_mul_f16_e32 v61, v40, v63
	v_mul_f16_e32 v62, v64, v82
	v_mul_f16_e32 v63, v39, v64
	v_mul_f16_e32 v64, v65, v83
	v_mul_f16_e32 v65, v38, v65
	v_mul_hi_u32 v8, 0x1a41a41b, v8
	v_add_co_u32 v2, vcc_lo, v0, v3
	v_fmac_f16_e32 v24, v56, v72
	v_fmac_f16_e32 v64, v38, v75
	v_fma_f16 v38, v75, v83, -v65
	s_wait_alu 0xfffd
	v_add_co_ci_u32_e32 v3, vcc_lo, v1, v4, vcc_lo
	v_mov_b32_e32 v4, v7
	v_mov_b32_e32 v10, v5
	v_add_nc_u32_e32 v12, 0x23c, v12
	v_lshrrev_b32_e32 v21, 2, v8
	v_sub_f16_e32 v16, v35, v24
	v_sub_f16_e32 v24, v32, v64
	v_sub_f16_e32 v25, v50, v38
	v_mad_co_u64_u32 v[4:5], null, s17, v11, v[4:5]
	v_lshlrev_b64_e32 v[7:8], 2, v[9:10]
	v_lshrrev_b32_e32 v22, 4, v12
	v_mul_u32_u24_e32 v5, 0x270, v21
	v_fma_f16 v32, v32, 2.0, -v24
	v_fma_f16 v41, v50, 2.0, -v25
	v_fmac_f16_e32 v62, v39, v74
	v_mul_hi_u32 v22, 0x1a41a41b, v22
	v_add_co_u32 v9, vcc_lo, v0, v7
	v_mov_b32_e32 v7, v4
	v_sub_nc_u32_e32 v4, v13, v5
	v_pack_b32_f16 v14, v32, v41
	s_wait_alu 0xfffd
	v_add_co_ci_u32_e32 v10, vcc_lo, v1, v8, vcc_lo
	v_pack_b32_f16 v8, v24, v25
	v_mad_u32_u24 v13, 0x4e0, v21, v4
	s_clause 0x1
	global_store_b32 v[2:3], v14, off
	global_store_b32 v[9:10], v8, off
	v_add_nc_u32_e32 v10, 0x270, v11
	v_lshrrev_b32_e32 v14, 2, v22
	v_add_nc_u32_e32 v21, 0x270, v13
	v_lshlrev_b64_e32 v[2:3], 2, v[6:7]
	v_mad_co_u64_u32 v[6:7], null, s16, v13, 0
	v_mad_co_u64_u32 v[4:5], null, s16, v10, 0
	v_mul_u32_u24_e32 v11, 0x270, v14
	v_fma_f16 v39, v74, v82, -v63
	v_mad_co_u64_u32 v[8:9], null, s16, v21, 0
	v_fma_f16 v40, v73, v81, -v61
	s_delay_alu instid0(VALU_DEP_4) | instskip(SKIP_3) | instid1(VALU_DEP_4)
	v_sub_nc_u32_e32 v12, v12, v11
	v_sub_f16_e32 v15, v33, v62
	v_sub_f16_e32 v20, v51, v39
	v_mad_co_u64_u32 v[10:11], null, s17, v10, v[5:6]
	v_mad_u32_u24 v14, 0x4e0, v14, v12
	v_mad_co_u64_u32 v[11:12], null, s17, v13, v[7:8]
	v_mov_b32_e32 v7, v9
	v_sub_f16_e32 v19, v52, v40
	v_fma_f16 v33, v33, 2.0, -v15
	v_fma_f16 v40, v51, 2.0, -v20
	v_mad_co_u64_u32 v[12:13], null, s16, v14, 0
	v_add_co_u32 v2, vcc_lo, v0, v2
	v_mov_b32_e32 v5, v10
	v_mad_co_u64_u32 v[9:10], null, s17, v21, v[7:8]
	v_add_nc_u32_e32 v21, 0x270, v14
	s_wait_alu 0xfffd
	v_add_co_ci_u32_e32 v3, vcc_lo, v1, v3, vcc_lo
	v_pack_b32_f16 v22, v33, v40
	v_mov_b32_e32 v7, v11
	v_mad_co_u64_u32 v[10:11], null, s16, v21, 0
	v_pack_b32_f16 v20, v15, v20
	global_store_b32 v[2:3], v22, off
	v_lshlrev_b64_e32 v[2:3], 2, v[4:5]
	v_mov_b32_e32 v4, v13
	v_lshlrev_b64_e32 v[6:7], 2, v[6:7]
	v_lshlrev_b64_e32 v[8:9], 2, v[8:9]
	v_fma_f16 v34, v34, 2.0, -v18
	v_fma_f16 v39, v52, 2.0, -v19
	v_mad_co_u64_u32 v[4:5], null, s17, v14, v[4:5]
	v_mov_b32_e32 v5, v11
	v_add_co_u32 v2, vcc_lo, v0, v2
	s_wait_alu 0xfffd
	v_add_co_ci_u32_e32 v3, vcc_lo, v1, v3, vcc_lo
	s_delay_alu instid0(VALU_DEP_3) | instskip(SKIP_4) | instid1(VALU_DEP_3)
	v_mad_co_u64_u32 v[14:15], null, s17, v21, v[5:6]
	v_mov_b32_e32 v13, v4
	v_add_co_u32 v4, vcc_lo, v0, v6
	s_wait_alu 0xfffd
	v_add_co_ci_u32_e32 v5, vcc_lo, v1, v7, vcc_lo
	v_lshlrev_b64_e32 v[6:7], 2, v[12:13]
	v_mov_b32_e32 v11, v14
	v_add_co_u32 v8, vcc_lo, v0, v8
	v_fma_f16 v35, v35, 2.0, -v16
	v_fma_f16 v38, v53, 2.0, -v17
	s_delay_alu instid0(VALU_DEP_4)
	v_lshlrev_b64_e32 v[10:11], 2, v[10:11]
	s_wait_alu 0xfffd
	v_add_co_ci_u32_e32 v9, vcc_lo, v1, v9, vcc_lo
	v_add_co_u32 v6, vcc_lo, v0, v6
	v_pack_b32_f16 v15, v34, v39
	s_wait_alu 0xfffd
	v_add_co_ci_u32_e32 v7, vcc_lo, v1, v7, vcc_lo
	v_pack_b32_f16 v12, v18, v19
	v_add_co_u32 v0, vcc_lo, v0, v10
	v_pack_b32_f16 v13, v35, v38
	s_wait_alu 0xfffd
	v_add_co_ci_u32_e32 v1, vcc_lo, v1, v11, vcc_lo
	v_pack_b32_f16 v10, v16, v17
	s_clause 0x4
	global_store_b32 v[2:3], v20, off
	global_store_b32 v[4:5], v15, off
	;; [unrolled: 1-line block ×5, first 2 shown]
.LBB0_23:
	s_nop 0
	s_sendmsg sendmsg(MSG_DEALLOC_VGPRS)
	s_endpgm
	.section	.rodata,"a",@progbits
	.p2align	6, 0x0
	.amdhsa_kernel fft_rtc_back_len1248_factors_2_2_13_2_3_2_2_wgs_52_tpt_52_halfLds_half_op_CI_CI_sbrr_dirReg
		.amdhsa_group_segment_fixed_size 0
		.amdhsa_private_segment_fixed_size 0
		.amdhsa_kernarg_size 104
		.amdhsa_user_sgpr_count 2
		.amdhsa_user_sgpr_dispatch_ptr 0
		.amdhsa_user_sgpr_queue_ptr 0
		.amdhsa_user_sgpr_kernarg_segment_ptr 1
		.amdhsa_user_sgpr_dispatch_id 0
		.amdhsa_user_sgpr_private_segment_size 0
		.amdhsa_wavefront_size32 1
		.amdhsa_uses_dynamic_stack 0
		.amdhsa_enable_private_segment 0
		.amdhsa_system_sgpr_workgroup_id_x 1
		.amdhsa_system_sgpr_workgroup_id_y 0
		.amdhsa_system_sgpr_workgroup_id_z 0
		.amdhsa_system_sgpr_workgroup_info 0
		.amdhsa_system_vgpr_workitem_id 0
		.amdhsa_next_free_vgpr 168
		.amdhsa_next_free_sgpr 43
		.amdhsa_reserve_vcc 1
		.amdhsa_float_round_mode_32 0
		.amdhsa_float_round_mode_16_64 0
		.amdhsa_float_denorm_mode_32 3
		.amdhsa_float_denorm_mode_16_64 3
		.amdhsa_fp16_overflow 0
		.amdhsa_workgroup_processor_mode 1
		.amdhsa_memory_ordered 1
		.amdhsa_forward_progress 0
		.amdhsa_round_robin_scheduling 0
		.amdhsa_exception_fp_ieee_invalid_op 0
		.amdhsa_exception_fp_denorm_src 0
		.amdhsa_exception_fp_ieee_div_zero 0
		.amdhsa_exception_fp_ieee_overflow 0
		.amdhsa_exception_fp_ieee_underflow 0
		.amdhsa_exception_fp_ieee_inexact 0
		.amdhsa_exception_int_div_zero 0
	.end_amdhsa_kernel
	.text
.Lfunc_end0:
	.size	fft_rtc_back_len1248_factors_2_2_13_2_3_2_2_wgs_52_tpt_52_halfLds_half_op_CI_CI_sbrr_dirReg, .Lfunc_end0-fft_rtc_back_len1248_factors_2_2_13_2_3_2_2_wgs_52_tpt_52_halfLds_half_op_CI_CI_sbrr_dirReg
                                        ; -- End function
	.section	.AMDGPU.csdata,"",@progbits
; Kernel info:
; codeLenInByte = 23488
; NumSgprs: 45
; NumVgprs: 168
; ScratchSize: 0
; MemoryBound: 0
; FloatMode: 240
; IeeeMode: 1
; LDSByteSize: 0 bytes/workgroup (compile time only)
; SGPRBlocks: 5
; VGPRBlocks: 20
; NumSGPRsForWavesPerEU: 45
; NumVGPRsForWavesPerEU: 168
; Occupancy: 9
; WaveLimiterHint : 1
; COMPUTE_PGM_RSRC2:SCRATCH_EN: 0
; COMPUTE_PGM_RSRC2:USER_SGPR: 2
; COMPUTE_PGM_RSRC2:TRAP_HANDLER: 0
; COMPUTE_PGM_RSRC2:TGID_X_EN: 1
; COMPUTE_PGM_RSRC2:TGID_Y_EN: 0
; COMPUTE_PGM_RSRC2:TGID_Z_EN: 0
; COMPUTE_PGM_RSRC2:TIDIG_COMP_CNT: 0
	.text
	.p2alignl 7, 3214868480
	.fill 96, 4, 3214868480
	.type	__hip_cuid_ca9f716944214fc0,@object ; @__hip_cuid_ca9f716944214fc0
	.section	.bss,"aw",@nobits
	.globl	__hip_cuid_ca9f716944214fc0
__hip_cuid_ca9f716944214fc0:
	.byte	0                               ; 0x0
	.size	__hip_cuid_ca9f716944214fc0, 1

	.ident	"AMD clang version 19.0.0git (https://github.com/RadeonOpenCompute/llvm-project roc-6.4.0 25133 c7fe45cf4b819c5991fe208aaa96edf142730f1d)"
	.section	".note.GNU-stack","",@progbits
	.addrsig
	.addrsig_sym __hip_cuid_ca9f716944214fc0
	.amdgpu_metadata
---
amdhsa.kernels:
  - .args:
      - .actual_access:  read_only
        .address_space:  global
        .offset:         0
        .size:           8
        .value_kind:     global_buffer
      - .offset:         8
        .size:           8
        .value_kind:     by_value
      - .actual_access:  read_only
        .address_space:  global
        .offset:         16
        .size:           8
        .value_kind:     global_buffer
      - .actual_access:  read_only
        .address_space:  global
        .offset:         24
        .size:           8
        .value_kind:     global_buffer
      - .actual_access:  read_only
        .address_space:  global
        .offset:         32
        .size:           8
        .value_kind:     global_buffer
      - .offset:         40
        .size:           8
        .value_kind:     by_value
      - .actual_access:  read_only
        .address_space:  global
        .offset:         48
        .size:           8
        .value_kind:     global_buffer
      - .actual_access:  read_only
        .address_space:  global
        .offset:         56
        .size:           8
        .value_kind:     global_buffer
      - .offset:         64
        .size:           4
        .value_kind:     by_value
      - .actual_access:  read_only
        .address_space:  global
        .offset:         72
        .size:           8
        .value_kind:     global_buffer
      - .actual_access:  read_only
        .address_space:  global
        .offset:         80
        .size:           8
        .value_kind:     global_buffer
      - .actual_access:  read_only
        .address_space:  global
        .offset:         88
        .size:           8
        .value_kind:     global_buffer
      - .actual_access:  write_only
        .address_space:  global
        .offset:         96
        .size:           8
        .value_kind:     global_buffer
    .group_segment_fixed_size: 0
    .kernarg_segment_align: 8
    .kernarg_segment_size: 104
    .language:       OpenCL C
    .language_version:
      - 2
      - 0
    .max_flat_workgroup_size: 52
    .name:           fft_rtc_back_len1248_factors_2_2_13_2_3_2_2_wgs_52_tpt_52_halfLds_half_op_CI_CI_sbrr_dirReg
    .private_segment_fixed_size: 0
    .sgpr_count:     45
    .sgpr_spill_count: 0
    .symbol:         fft_rtc_back_len1248_factors_2_2_13_2_3_2_2_wgs_52_tpt_52_halfLds_half_op_CI_CI_sbrr_dirReg.kd
    .uniform_work_group_size: 1
    .uses_dynamic_stack: false
    .vgpr_count:     168
    .vgpr_spill_count: 0
    .wavefront_size: 32
    .workgroup_processor_mode: 1
amdhsa.target:   amdgcn-amd-amdhsa--gfx1201
amdhsa.version:
  - 1
  - 2
...

	.end_amdgpu_metadata
